;; amdgpu-corpus repo=ROCm/rocFFT kind=compiled arch=gfx1030 opt=O3
	.text
	.amdgcn_target "amdgcn-amd-amdhsa--gfx1030"
	.amdhsa_code_object_version 6
	.protected	bluestein_single_back_len143_dim1_dp_op_CI_CI ; -- Begin function bluestein_single_back_len143_dim1_dp_op_CI_CI
	.globl	bluestein_single_back_len143_dim1_dp_op_CI_CI
	.p2align	8
	.type	bluestein_single_back_len143_dim1_dp_op_CI_CI,@function
bluestein_single_back_len143_dim1_dp_op_CI_CI: ; @bluestein_single_back_len143_dim1_dp_op_CI_CI
; %bb.0:
	s_load_dwordx4 s[0:3], s[4:5], 0x28
	v_mul_u32_u24_e32 v1, 0x13b2, v0
	v_lshrrev_b32_e32 v1, 16, v1
	v_mad_u64_u32 v[92:93], null, s6, 14, v[1:2]
	v_mov_b32_e32 v93, 0
	s_waitcnt lgkmcnt(0)
	v_cmp_gt_u64_e32 vcc_lo, s[0:1], v[92:93]
	s_and_saveexec_b32 s0, vcc_lo
	s_cbranch_execz .LBB0_15
; %bb.1:
	v_lshrrev_b32_e32 v2, 1, v92
	v_mul_lo_u16 v1, v1, 13
	s_clause 0x1
	s_load_dwordx2 s[12:13], s[4:5], 0x0
	s_load_dwordx2 s[14:15], s[4:5], 0x38
	v_mul_hi_u32 v2, 0x92492493, v2
	v_sub_nc_u16 v0, v0, v1
	v_and_b32_e32 v158, 0xffff, v0
	v_cmp_gt_u16_e32 vcc_lo, 11, v0
	v_lshrrev_b32_e32 v2, 2, v2
	v_lshlrev_b32_e32 v157, 4, v158
	v_mul_lo_u32 v2, v2, 14
	v_sub_nc_u32_e32 v1, v92, v2
	v_mul_u32_u24_e32 v161, 0x8f, v1
	v_lshlrev_b32_e32 v159, 4, v161
	s_and_saveexec_b32 s1, vcc_lo
	s_cbranch_execz .LBB0_3
; %bb.2:
	s_load_dwordx2 s[6:7], s[4:5], 0x18
	s_waitcnt lgkmcnt(0)
	v_add_co_u32 v46, s0, s12, v157
	v_add_co_ci_u32_e64 v47, null, s13, 0, s0
	s_load_dwordx4 s[8:11], s[6:7], 0x0
	s_waitcnt lgkmcnt(0)
	v_mad_u64_u32 v[20:21], null, s10, v92, 0
	v_mad_u64_u32 v[28:29], null, s8, v158, 0
	s_mul_i32 s6, s9, 0xb0
	s_mul_hi_u32 s7, s8, 0xb0
	s_add_i32 s7, s7, s6
	v_mov_b32_e32 v0, v21
	v_mov_b32_e32 v1, v29
	v_mad_u64_u32 v[4:5], null, s11, v92, v[0:1]
	v_mad_u64_u32 v[22:23], null, s9, v158, v[1:2]
	global_load_dwordx4 v[0:3], v157, s[12:13]
	v_mov_b32_e32 v21, v4
	s_clause 0x3
	global_load_dwordx4 v[4:7], v157, s[12:13] offset:176
	global_load_dwordx4 v[8:11], v157, s[12:13] offset:352
	;; [unrolled: 1-line block ×4, first 2 shown]
	v_mov_b32_e32 v29, v22
	v_lshlrev_b64 v[30:31], 4, v[20:21]
	s_clause 0x1
	global_load_dwordx4 v[20:23], v157, s[12:13] offset:880
	global_load_dwordx4 v[24:27], v157, s[12:13] offset:1056
	v_lshlrev_b64 v[28:29], 4, v[28:29]
	v_add_co_u32 v30, s0, s2, v30
	v_add_co_ci_u32_e64 v31, s0, s3, v31, s0
	s_mul_i32 s2, s8, 0xb0
	v_add_co_u32 v44, s0, v30, v28
	v_add_co_ci_u32_e64 v45, s0, v31, v29, s0
	s_clause 0x1
	global_load_dwordx4 v[28:31], v157, s[12:13] offset:1232
	global_load_dwordx4 v[32:35], v157, s[12:13] offset:1408
	v_add_co_u32 v48, s0, v44, s2
	v_add_co_ci_u32_e64 v49, s0, s7, v45, s0
	s_clause 0x1
	global_load_dwordx4 v[36:39], v157, s[12:13] offset:1584
	global_load_dwordx4 v[40:43], v157, s[12:13] offset:1760
	v_add_co_u32 v52, s0, v48, s2
	v_add_co_ci_u32_e64 v53, s0, s7, v49, s0
	v_add_co_u32 v56, s0, v52, s2
	v_add_co_ci_u32_e64 v57, s0, s7, v53, s0
	;; [unrolled: 2-line block ×4, first 2 shown]
	s_clause 0x1
	global_load_dwordx4 v[44:47], v[44:45], off
	global_load_dwordx4 v[48:51], v[48:49], off
	v_add_co_u32 v64, s0, v60, s2
	v_add_co_ci_u32_e64 v65, s0, s7, v61, s0
	s_clause 0x1
	global_load_dwordx4 v[52:55], v[52:53], off
	global_load_dwordx4 v[56:59], v[56:57], off
	v_add_co_u32 v68, s0, v64, s2
	v_add_co_ci_u32_e64 v69, s0, s7, v65, s0
	global_load_dwordx4 v[60:63], v[60:61], off
	v_add_co_u32 v72, s0, v68, s2
	v_add_co_ci_u32_e64 v73, s0, s7, v69, s0
	;; [unrolled: 3-line block ×7, first 2 shown]
	global_load_dwordx4 v[84:87], v[84:85], off
	global_load_dwordx4 v[88:91], v157, s[12:13] offset:1936
	global_load_dwordx4 v[93:96], v[93:94], off
	global_load_dwordx4 v[97:100], v[97:98], off offset:64
	global_load_dwordx4 v[101:104], v[101:102], off
	s_waitcnt vmcnt(14)
	v_mul_f64 v[105:106], v[46:47], v[2:3]
	v_mul_f64 v[2:3], v[44:45], v[2:3]
	s_waitcnt vmcnt(13)
	v_mul_f64 v[107:108], v[50:51], v[6:7]
	v_mul_f64 v[6:7], v[48:49], v[6:7]
	;; [unrolled: 3-line block ×5, first 2 shown]
	v_fma_f64 v[44:45], v[44:45], v[0:1], v[105:106]
	s_waitcnt vmcnt(9)
	v_mul_f64 v[105:106], v[66:67], v[22:23]
	v_mul_f64 v[22:23], v[64:65], v[22:23]
	v_fma_f64 v[46:47], v[46:47], v[0:1], -v[2:3]
	v_fma_f64 v[0:1], v[48:49], v[4:5], v[107:108]
	s_waitcnt vmcnt(8)
	v_mul_f64 v[48:49], v[70:71], v[26:27]
	v_mul_f64 v[26:27], v[68:69], v[26:27]
	v_fma_f64 v[2:3], v[50:51], v[4:5], -v[6:7]
	s_waitcnt vmcnt(7)
	v_mul_f64 v[50:51], v[74:75], v[30:31]
	v_mul_f64 v[30:31], v[72:73], v[30:31]
	s_waitcnt vmcnt(6)
	v_mul_f64 v[107:108], v[78:79], v[34:35]
	v_mul_f64 v[34:35], v[76:77], v[34:35]
	v_fma_f64 v[4:5], v[52:53], v[8:9], v[109:110]
	v_fma_f64 v[6:7], v[54:55], v[8:9], -v[10:11]
	s_waitcnt vmcnt(5)
	v_mul_f64 v[115:116], v[82:83], v[38:39]
	v_mul_f64 v[38:39], v[80:81], v[38:39]
	s_waitcnt vmcnt(4)
	v_mul_f64 v[117:118], v[86:87], v[42:43]
	v_mul_f64 v[42:43], v[84:85], v[42:43]
	;; [unrolled: 3-line block ×4, first 2 shown]
	v_fma_f64 v[8:9], v[56:57], v[12:13], v[111:112]
	v_fma_f64 v[10:11], v[58:59], v[12:13], -v[14:15]
	v_fma_f64 v[12:13], v[60:61], v[16:17], v[113:114]
	v_fma_f64 v[14:15], v[62:63], v[16:17], -v[18:19]
	v_fma_f64 v[16:17], v[64:65], v[20:21], v[105:106]
	v_fma_f64 v[18:19], v[66:67], v[20:21], -v[22:23]
	v_fma_f64 v[20:21], v[68:69], v[24:25], v[48:49]
	v_fma_f64 v[22:23], v[70:71], v[24:25], -v[26:27]
	v_fma_f64 v[24:25], v[72:73], v[28:29], v[50:51]
	v_fma_f64 v[26:27], v[74:75], v[28:29], -v[30:31]
	v_fma_f64 v[28:29], v[76:77], v[32:33], v[107:108]
	v_fma_f64 v[30:31], v[78:79], v[32:33], -v[34:35]
	v_lshl_add_u32 v52, v158, 4, v159
	v_add_nc_u32_e32 v53, v159, v157
	v_fma_f64 v[32:33], v[80:81], v[36:37], v[115:116]
	v_fma_f64 v[34:35], v[82:83], v[36:37], -v[38:39]
	v_fma_f64 v[36:37], v[84:85], v[40:41], v[117:118]
	v_fma_f64 v[38:39], v[86:87], v[40:41], -v[42:43]
	;; [unrolled: 2-line block ×4, first 2 shown]
	ds_write_b128 v52, v[44:47]
	ds_write_b128 v53, v[0:3] offset:176
	ds_write_b128 v53, v[4:7] offset:352
	;; [unrolled: 1-line block ×12, first 2 shown]
.LBB0_3:
	s_or_b32 exec_lo, exec_lo, s1
	s_clause 0x1
	s_load_dwordx2 s[2:3], s[4:5], 0x20
	s_load_dwordx2 s[0:1], s[4:5], 0x8
	s_waitcnt lgkmcnt(0)
	s_barrier
	buffer_gl0_inv
                                        ; implicit-def: $vgpr24_vgpr25
                                        ; implicit-def: $vgpr56_vgpr57
                                        ; implicit-def: $vgpr52_vgpr53
                                        ; implicit-def: $vgpr48_vgpr49
                                        ; implicit-def: $vgpr44_vgpr45
                                        ; implicit-def: $vgpr40_vgpr41
                                        ; implicit-def: $vgpr36_vgpr37
                                        ; implicit-def: $vgpr32_vgpr33
                                        ; implicit-def: $vgpr28_vgpr29
                                        ; implicit-def: $vgpr20_vgpr21
                                        ; implicit-def: $vgpr16_vgpr17
                                        ; implicit-def: $vgpr12_vgpr13
                                        ; implicit-def: $vgpr8_vgpr9
	s_and_saveexec_b32 s4, vcc_lo
	s_cbranch_execz .LBB0_5
; %bb.4:
	v_lshl_add_u32 v0, v161, 4, v157
	ds_read_b128 v[24:27], v0
	ds_read_b128 v[56:59], v0 offset:176
	ds_read_b128 v[52:55], v0 offset:352
	;; [unrolled: 1-line block ×12, first 2 shown]
.LBB0_5:
	s_or_b32 exec_lo, exec_lo, s4
	s_waitcnt lgkmcnt(0)
	v_add_f64 v[153:154], v[58:59], -v[10:11]
	v_add_f64 v[101:102], v[56:57], -v[8:9]
	s_mov_b32 s4, 0x4267c47c
	s_mov_b32 s6, 0x42a4c3d2
	;; [unrolled: 1-line block ×4, first 2 shown]
	v_add_f64 v[97:98], v[56:57], v[8:9]
	v_add_f64 v[155:156], v[58:59], v[10:11]
	v_add_f64 v[60:61], v[54:55], -v[14:15]
	v_add_f64 v[62:63], v[52:53], -v[12:13]
	s_mov_b32 s10, 0xe00740e9
	s_mov_b32 s8, 0x1ea71119
	;; [unrolled: 1-line block ×6, first 2 shown]
	v_add_f64 v[90:91], v[52:53], v[12:13]
	v_add_f64 v[145:146], v[54:55], v[14:15]
	v_add_f64 v[137:138], v[50:51], -v[18:19]
	v_add_f64 v[115:116], v[48:49], -v[16:17]
	s_mov_b32 s30, 0x66966769
	s_mov_b32 s24, 0xb2365da1
	v_mul_f64 v[133:134], v[153:154], s[4:5]
	v_mul_f64 v[139:140], v[101:102], s[4:5]
	;; [unrolled: 1-line block ×4, first 2 shown]
	s_mov_b32 s38, 0x4bc48dbf
	s_mov_b32 s31, 0xbfefc445
	;; [unrolled: 1-line block ×4, first 2 shown]
	v_mul_f64 v[111:112], v[60:61], s[6:7]
	v_mul_f64 v[123:124], v[62:63], s[6:7]
	;; [unrolled: 1-line block ×4, first 2 shown]
	v_add_f64 v[125:126], v[48:49], v[16:17]
	v_add_f64 v[147:148], v[50:51], v[18:19]
	v_add_f64 v[64:65], v[44:45], -v[20:21]
	v_add_f64 v[78:79], v[46:47], -v[22:23]
	s_mov_b32 s28, 0xebaa3ed8
	s_mov_b32 s16, 0x24c2f84
	v_mul_f64 v[105:106], v[137:138], s[30:31]
	v_mul_f64 v[117:118], v[115:116], s[30:31]
	;; [unrolled: 1-line block ×4, first 2 shown]
	v_fma_f64 v[0:1], v[97:98], s[10:11], v[133:134]
	v_fma_f64 v[2:3], v[155:156], s[10:11], -v[139:140]
	v_fma_f64 v[4:5], v[97:98], s[8:9], v[149:150]
	v_fma_f64 v[6:7], v[155:156], s[8:9], -v[151:152]
	s_mov_b32 s26, 0x93053d00
	s_mov_b32 s29, 0x3fbedb7d
	s_mov_b32 s17, 0x3fe5384d
	s_mov_b32 s27, 0xbfef11f4
	v_fma_f64 v[68:69], v[90:91], s[8:9], v[111:112]
	v_fma_f64 v[72:73], v[145:146], s[8:9], -v[123:124]
	v_fma_f64 v[74:75], v[90:91], s[24:25], v[141:142]
	v_fma_f64 v[84:85], v[145:146], s[24:25], -v[143:144]
	v_add_f64 v[70:71], v[44:45], v[20:21]
	v_add_f64 v[127:128], v[46:47], v[22:23]
	v_add_f64 v[66:67], v[40:41], -v[28:29]
	v_add_f64 v[80:81], v[42:43], -v[30:31]
	v_mul_f64 v[76:77], v[78:79], s[18:19]
	v_mul_f64 v[82:83], v[64:65], s[18:19]
	;; [unrolled: 1-line block ×4, first 2 shown]
	v_fma_f64 v[88:89], v[125:126], s[28:29], v[105:106]
	v_fma_f64 v[99:100], v[147:148], s[28:29], -v[117:118]
	v_add_f64 v[0:1], v[24:25], v[0:1]
	v_add_f64 v[2:3], v[26:27], v[2:3]
	v_add_f64 v[4:5], v[24:25], v[4:5]
	v_add_f64 v[6:7], v[26:27], v[6:7]
	v_fma_f64 v[107:108], v[125:126], s[26:27], v[129:130]
	v_fma_f64 v[113:114], v[147:148], s[26:27], -v[135:136]
	s_mov_b32 s20, 0xd0032e0c
	s_mov_b32 s23, 0xbfe5384d
	;; [unrolled: 1-line block ×6, first 2 shown]
	v_add_f64 v[119:120], v[42:43], v[30:31]
	v_add_f64 v[93:94], v[38:39], -v[34:35]
	v_mul_f64 v[86:87], v[66:67], s[22:23]
	v_mul_f64 v[95:96], v[80:81], s[34:35]
	;; [unrolled: 1-line block ×3, first 2 shown]
	v_fma_f64 v[162:163], v[70:71], s[24:25], v[76:77]
	v_fma_f64 v[164:165], v[127:128], s[24:25], -v[82:83]
	v_fma_f64 v[166:167], v[70:71], s[20:21], v[103:104]
	v_fma_f64 v[168:169], v[127:128], s[20:21], -v[121:122]
	s_mov_b32 s37, 0x3fddbe06
	v_add_f64 v[0:1], v[68:69], v[0:1]
	v_add_f64 v[2:3], v[72:73], v[2:3]
	;; [unrolled: 1-line block ×5, first 2 shown]
	v_add_f64 v[68:69], v[36:37], -v[32:33]
	v_mul_f64 v[84:85], v[80:81], s[22:23]
	s_mov_b32 s36, s4
	v_add_f64 v[74:75], v[36:37], v[32:33]
	v_add_f64 v[131:132], v[38:39], v[34:35]
	v_mul_lo_u16 v160, v158, 13
	s_barrier
	buffer_gl0_inv
	v_fma_f64 v[172:173], v[119:120], s[20:21], -v[86:87]
	v_fma_f64 v[176:177], v[119:120], s[28:29], -v[109:110]
	v_add_f64 v[0:1], v[88:89], v[0:1]
	v_add_f64 v[2:3], v[99:100], v[2:3]
	;; [unrolled: 1-line block ×4, first 2 shown]
	v_mul_f64 v[88:89], v[93:94], s[38:39]
	v_mul_f64 v[99:100], v[68:69], s[38:39]
	;; [unrolled: 1-line block ×4, first 2 shown]
	v_fma_f64 v[170:171], v[72:73], s[20:21], v[84:85]
	v_fma_f64 v[174:175], v[72:73], s[28:29], v[95:96]
	v_add_f64 v[0:1], v[162:163], v[0:1]
	v_add_f64 v[2:3], v[164:165], v[2:3]
	;; [unrolled: 1-line block ×4, first 2 shown]
	v_fma_f64 v[162:163], v[74:75], s[26:27], v[88:89]
	v_fma_f64 v[164:165], v[131:132], s[26:27], -v[99:100]
	v_fma_f64 v[166:167], v[74:75], s[10:11], v[107:108]
	v_fma_f64 v[168:169], v[131:132], s[10:11], -v[113:114]
	v_add_f64 v[0:1], v[170:171], v[0:1]
	v_add_f64 v[2:3], v[172:173], v[2:3]
	;; [unrolled: 1-line block ×8, first 2 shown]
	s_and_saveexec_b32 s33, vcc_lo
	s_cbranch_execz .LBB0_7
; %bb.6:
	v_add_f64 v[56:57], v[24:25], v[56:57]
	v_add_f64 v[58:59], v[26:27], v[58:59]
	v_mul_f64 v[162:163], v[155:156], s[26:27]
	v_mul_f64 v[168:169], v[153:154], s[38:39]
	;; [unrolled: 1-line block ×4, first 2 shown]
	s_mov_b32 s41, 0x3fcea1e5
	s_mov_b32 s40, s38
	v_mul_f64 v[172:173], v[155:156], s[8:9]
	v_mul_f64 v[178:179], v[155:156], s[24:25]
	;; [unrolled: 1-line block ×9, first 2 shown]
	s_mov_b32 s43, 0x3fedeba7
	s_mov_b32 s42, s18
	v_mul_f64 v[170:171], v[97:98], s[8:9]
	v_mul_f64 v[190:191], v[145:146], s[20:21]
	;; [unrolled: 1-line block ×3, first 2 shown]
	v_add_f64 v[52:53], v[56:57], v[52:53]
	v_add_f64 v[54:55], v[58:59], v[54:55]
	v_fma_f64 v[220:221], v[101:102], s[40:41], v[162:163]
	v_mul_f64 v[56:57], v[60:61], s[36:37]
	v_fma_f64 v[222:223], v[97:98], s[26:27], v[168:169]
	v_fma_f64 v[162:163], v[101:102], s[38:39], v[162:163]
	v_fma_f64 v[168:169], v[97:98], s[26:27], -v[168:169]
	v_mul_f64 v[58:59], v[145:146], s[28:29]
	v_fma_f64 v[224:225], v[101:102], s[16:17], v[174:175]
	v_fma_f64 v[226:227], v[97:98], s[20:21], v[176:177]
	;; [unrolled: 1-line block ×3, first 2 shown]
	v_fma_f64 v[176:177], v[97:98], s[20:21], -v[176:177]
	v_fma_f64 v[228:229], v[101:102], s[42:43], v[178:179]
	v_add_f64 v[151:152], v[151:152], v[172:173]
	v_mul_f64 v[186:187], v[137:138], s[22:23]
	v_fma_f64 v[230:231], v[97:98], s[24:25], v[180:181]
	v_fma_f64 v[178:179], v[101:102], s[18:19], v[178:179]
	v_fma_f64 v[180:181], v[97:98], s[24:25], -v[180:181]
	v_fma_f64 v[232:233], v[101:102], s[34:35], v[155:156]
	v_fma_f64 v[101:102], v[101:102], s[30:31], v[155:156]
	;; [unrolled: 1-line block ×3, first 2 shown]
	v_fma_f64 v[97:98], v[97:98], s[28:29], -v[153:154]
	v_add_f64 v[48:49], v[52:53], v[48:49]
	v_add_f64 v[50:51], v[54:55], v[50:51]
	;; [unrolled: 1-line block ×3, first 2 shown]
	v_fma_f64 v[153:154], v[62:63], s[36:37], v[182:183]
	v_mul_f64 v[194:195], v[147:148], s[8:9]
	v_add_f64 v[162:163], v[26:27], v[162:163]
	v_add_f64 v[168:169], v[24:25], v[168:169]
	v_mul_f64 v[196:197], v[137:138], s[6:7]
	v_add_f64 v[133:134], v[164:165], -v[133:134]
	v_fma_f64 v[164:165], v[62:63], s[30:31], v[58:59]
	s_mov_b32 s45, 0x3fea55e2
	s_mov_b32 s44, s6
	v_mul_f64 v[192:193], v[60:61], s[16:17]
	v_add_f64 v[149:150], v[170:171], -v[149:150]
	v_fma_f64 v[58:59], v[62:63], s[34:35], v[58:59]
	v_fma_f64 v[170:171], v[90:91], s[28:29], -v[188:189]
	v_add_f64 v[174:175], v[26:27], v[174:175]
	v_add_f64 v[176:177], v[24:25], v[176:177]
	v_mul_f64 v[200:201], v[127:128], s[8:9]
	v_mul_f64 v[52:53], v[78:79], s[44:45]
	v_fma_f64 v[234:235], v[125:126], s[20:21], v[186:187]
	v_fma_f64 v[186:187], v[125:126], s[20:21], -v[186:187]
	v_add_f64 v[44:45], v[48:49], v[44:45]
	v_add_f64 v[46:47], v[50:51], v[46:47]
	v_fma_f64 v[48:49], v[62:63], s[4:5], v[182:183]
	v_add_f64 v[50:51], v[139:140], v[166:167]
	v_fma_f64 v[139:140], v[90:91], s[10:11], v[56:57]
	v_add_f64 v[182:183], v[24:25], v[222:223]
	v_fma_f64 v[56:57], v[90:91], s[10:11], -v[56:57]
	v_fma_f64 v[166:167], v[90:91], s[28:29], v[188:189]
	v_fma_f64 v[188:189], v[62:63], s[22:23], v[190:191]
	;; [unrolled: 1-line block ×4, first 2 shown]
	v_add_f64 v[153:154], v[153:154], v[162:163]
	v_mul_f64 v[204:205], v[127:128], s[26:27]
	v_mul_f64 v[54:55], v[78:79], s[40:41]
	;; [unrolled: 1-line block ×4, first 2 shown]
	v_fma_f64 v[220:221], v[90:91], s[20:21], v[192:193]
	v_add_f64 v[58:59], v[58:59], v[174:175]
	v_add_f64 v[170:171], v[170:171], v[176:177]
	v_mul_f64 v[202:203], v[119:120], s[24:25]
	v_mul_f64 v[206:207], v[80:81], s[18:19]
	v_fma_f64 v[162:163], v[64:65], s[44:45], v[200:201]
	v_add_f64 v[40:41], v[44:45], v[40:41]
	v_add_f64 v[42:43], v[46:47], v[42:43]
	;; [unrolled: 1-line block ×8, first 2 shown]
	v_fma_f64 v[44:45], v[115:116], s[44:45], v[194:195]
	v_fma_f64 v[226:227], v[125:126], s[8:9], v[196:197]
	;; [unrolled: 1-line block ×3, first 2 shown]
	v_fma_f64 v[196:197], v[125:126], s[8:9], -v[196:197]
	v_fma_f64 v[176:177], v[70:71], s[8:9], v[52:53]
	v_add_f64 v[153:154], v[184:185], v[153:154]
	v_fma_f64 v[52:53], v[70:71], s[8:9], -v[52:53]
	v_mul_f64 v[214:215], v[80:81], s[36:37]
	v_fma_f64 v[182:183], v[64:65], s[38:39], v[204:205]
	v_fma_f64 v[184:185], v[70:71], s[26:27], v[54:55]
	v_mul_f64 v[212:213], v[119:120], s[10:11]
	v_fma_f64 v[236:237], v[115:116], s[4:5], v[198:199]
	v_fma_f64 v[204:205], v[64:65], s[40:41], v[204:205]
	v_fma_f64 v[168:169], v[125:126], s[10:11], v[210:211]
	v_add_f64 v[36:37], v[40:41], v[36:37]
	v_add_f64 v[38:39], v[42:43], v[38:39]
	;; [unrolled: 1-line block ×4, first 2 shown]
	v_fma_f64 v[54:55], v[70:71], s[26:27], -v[54:55]
	v_add_f64 v[172:173], v[188:189], v[172:173]
	v_add_f64 v[188:189], v[24:25], v[230:231]
	;; [unrolled: 1-line block ×7, first 2 shown]
	v_mul_f64 v[208:209], v[127:128], s[28:29]
	v_fma_f64 v[40:41], v[72:73], s[24:25], v[206:207]
	v_fma_f64 v[164:165], v[66:67], s[18:19], v[202:203]
	v_add_f64 v[153:154], v[162:163], v[153:154]
	v_fma_f64 v[190:191], v[62:63], s[16:17], v[190:191]
	v_mul_f64 v[216:217], v[119:120], s[26:27]
	v_mul_f64 v[218:219], v[78:79], s[30:31]
	v_fma_f64 v[174:175], v[115:116], s[36:37], v[198:199]
	v_add_f64 v[97:98], v[24:25], v[97:98]
	v_add_f64 v[149:150], v[24:25], v[149:150]
	;; [unrolled: 1-line block ×14, first 2 shown]
	v_fma_f64 v[56:57], v[72:73], s[10:11], v[214:215]
	v_mul_f64 v[170:171], v[145:146], s[26:27]
	v_add_f64 v[162:163], v[236:237], v[172:173]
	v_fma_f64 v[172:173], v[66:67], s[36:37], v[212:213]
	v_fma_f64 v[166:167], v[64:65], s[34:35], v[208:209]
	v_add_f64 v[36:37], v[24:25], v[180:181]
	v_add_f64 v[24:25], v[24:25], v[133:134]
	v_add_f64 v[133:134], v[190:191], v[178:179]
	v_mul_f64 v[60:61], v[60:61], s[38:39]
	v_mul_f64 v[137:138], v[137:138], s[42:43]
	v_add_f64 v[28:29], v[32:33], v[28:29]
	v_fma_f64 v[32:33], v[72:73], s[24:25], -v[206:207]
	v_add_f64 v[30:31], v[34:35], v[30:31]
	v_add_f64 v[34:35], v[182:183], v[38:39]
	;; [unrolled: 1-line block ×4, first 2 shown]
	v_fma_f64 v[42:43], v[66:67], s[4:5], v[212:213]
	v_add_f64 v[54:55], v[54:55], v[155:156]
	v_fma_f64 v[155:156], v[72:73], s[10:11], -v[214:215]
	v_add_f64 v[50:51], v[168:169], v[50:51]
	v_mul_f64 v[168:169], v[145:146], s[8:9]
	v_mul_f64 v[145:146], v[145:146], s[24:25]
	v_add_f64 v[40:41], v[40:41], v[139:140]
	v_add_f64 v[139:140], v[164:165], v[153:154]
	v_mul_f64 v[164:165], v[90:91], s[8:9]
	v_fma_f64 v[153:154], v[66:67], s[38:39], v[216:217]
	v_add_f64 v[162:163], v[166:167], v[162:163]
	v_fma_f64 v[166:167], v[70:71], s[28:29], v[218:219]
	v_fma_f64 v[176:177], v[90:91], s[20:21], -v[192:193]
	v_add_f64 v[133:134], v[174:175], v[133:134]
	v_fma_f64 v[174:175], v[64:65], s[30:31], v[208:209]
	v_fma_f64 v[178:179], v[125:126], s[10:11], -v[210:211]
	v_mul_f64 v[78:79], v[78:79], s[36:37]
	v_add_f64 v[32:33], v[32:33], v[52:53]
	v_mul_f64 v[52:53], v[90:91], s[24:25]
	v_add_f64 v[22:23], v[30:31], v[22:23]
	v_add_f64 v[56:57], v[56:57], v[38:39]
	v_fma_f64 v[38:39], v[62:63], s[40:41], v[170:171]
	v_fma_f64 v[62:63], v[62:63], s[38:39], v[170:171]
	v_add_f64 v[46:47], v[172:173], v[46:47]
	v_mul_f64 v[172:173], v[147:148], s[24:25]
	v_add_f64 v[54:55], v[155:156], v[54:55]
	v_mul_f64 v[155:156], v[147:148], s[28:29]
	v_mul_f64 v[147:148], v[147:148], s[26:27]
	v_add_f64 v[143:144], v[143:144], v[145:146]
	v_add_f64 v[34:35], v[42:43], v[34:35]
	v_mul_f64 v[42:43], v[125:126], s[28:29]
	v_add_f64 v[123:124], v[123:124], v[168:169]
	v_add_f64 v[111:112], v[164:165], -v[111:112]
	v_mul_f64 v[170:171], v[125:126], s[26:27]
	v_mul_f64 v[145:146], v[127:128], s[20:21]
	v_add_f64 v[153:154], v[153:154], v[162:163]
	v_mul_f64 v[162:163], v[70:71], s[24:25]
	v_add_f64 v[50:51], v[166:167], v[50:51]
	;; [unrolled: 2-line block ×3, first 2 shown]
	v_add_f64 v[52:53], v[52:53], -v[141:142]
	v_mul_f64 v[174:175], v[70:71], s[20:21]
	v_mul_f64 v[127:128], v[127:128], s[10:11]
	v_add_f64 v[36:37], v[176:177], v[36:37]
	v_add_f64 v[62:63], v[62:63], v[101:102]
	v_fma_f64 v[101:102], v[90:91], s[26:27], -v[60:61]
	v_fma_f64 v[60:61], v[90:91], s[26:27], v[60:61]
	v_fma_f64 v[168:169], v[115:116], s[18:19], v[172:173]
	v_add_f64 v[117:118], v[117:118], v[155:156]
	v_add_f64 v[135:136], v[135:136], v[147:148]
	;; [unrolled: 1-line block ×3, first 2 shown]
	v_fma_f64 v[115:116], v[115:116], s[42:43], v[172:173]
	v_add_f64 v[42:43], v[42:43], -v[105:106]
	v_add_f64 v[26:27], v[123:124], v[26:27]
	v_add_f64 v[24:25], v[111:112], v[24:25]
	v_add_f64 v[129:130], v[170:171], -v[129:130]
	v_fma_f64 v[90:91], v[125:126], s[24:25], v[137:138]
	v_fma_f64 v[125:126], v[125:126], s[24:25], -v[137:138]
	v_add_f64 v[38:39], v[38:39], v[44:45]
	v_mul_f64 v[137:138], v[119:120], s[28:29]
	v_mul_f64 v[105:106], v[80:81], s[40:41]
	v_add_f64 v[121:122], v[121:122], v[145:146]
	v_add_f64 v[52:53], v[52:53], v[149:150]
	;; [unrolled: 1-line block ×3, first 2 shown]
	v_mul_f64 v[176:177], v[72:73], s[20:21]
	v_mul_f64 v[141:142], v[119:120], s[20:21]
	v_add_f64 v[82:83], v[82:83], v[166:167]
	v_add_f64 v[97:98], v[101:102], v[97:98]
	;; [unrolled: 1-line block ×3, first 2 shown]
	v_add_f64 v[76:77], v[162:163], -v[76:77]
	v_mul_f64 v[44:45], v[72:73], s[28:29]
	v_add_f64 v[103:104], v[174:175], -v[103:104]
	v_add_f64 v[135:136], v[135:136], v[143:144]
	v_add_f64 v[62:63], v[115:116], v[62:63]
	v_mul_f64 v[119:120], v[119:120], s[8:9]
	v_add_f64 v[26:27], v[117:118], v[26:27]
	v_add_f64 v[24:25], v[42:43], v[24:25]
	v_fma_f64 v[166:167], v[64:65], s[36:37], v[127:128]
	v_mul_f64 v[80:81], v[80:81], s[6:7]
	v_fma_f64 v[162:163], v[70:71], s[10:11], -v[78:79]
	v_fma_f64 v[182:183], v[70:71], s[28:29], -v[218:219]
	v_add_f64 v[36:37], v[178:179], v[36:37]
	v_fma_f64 v[238:239], v[64:65], s[6:7], v[200:201]
	v_add_f64 v[48:49], v[222:223], v[48:49]
	v_add_f64 v[28:29], v[129:130], v[52:53]
	v_fma_f64 v[64:65], v[64:65], s[4:5], v[127:128]
	v_add_f64 v[38:39], v[168:169], v[38:39]
	v_fma_f64 v[70:71], v[70:71], s[10:11], v[78:79]
	v_mul_f64 v[149:150], v[131:132], s[26:27]
	v_add_f64 v[30:31], v[125:126], v[97:98]
	v_add_f64 v[58:59], v[90:91], v[58:59]
	v_fma_f64 v[117:118], v[72:73], s[26:27], v[105:106]
	v_fma_f64 v[42:43], v[72:73], s[26:27], -v[105:106]
	v_add_f64 v[97:98], v[109:110], v[137:138]
	v_add_f64 v[105:106], v[121:122], v[135:136]
	;; [unrolled: 1-line block ×4, first 2 shown]
	v_mul_f64 v[164:165], v[93:94], s[34:35]
	v_mul_f64 v[147:148], v[74:75], s[26:27]
	v_add_f64 v[86:87], v[86:87], v[141:142]
	v_add_f64 v[26:27], v[82:83], v[26:27]
	v_add_f64 v[82:83], v[176:177], -v[84:85]
	v_add_f64 v[20:21], v[76:77], v[24:25]
	v_mul_f64 v[155:156], v[131:132], s[8:9]
	v_mul_f64 v[123:124], v[74:75], s[10:11]
	;; [unrolled: 1-line block ×3, first 2 shown]
	v_fma_f64 v[180:181], v[66:67], s[40:41], v[216:217]
	v_fma_f64 v[90:91], v[66:67], s[6:7], v[119:120]
	v_add_f64 v[62:63], v[166:167], v[62:63]
	v_add_f64 v[44:45], v[44:45], -v[95:96]
	v_add_f64 v[22:23], v[103:104], v[28:29]
	v_mul_f64 v[151:152], v[131:132], s[24:25]
	v_mul_f64 v[170:171], v[93:94], s[18:19]
	;; [unrolled: 1-line block ×5, first 2 shown]
	v_fma_f64 v[93:94], v[72:73], s[8:9], -v[80:81]
	v_add_f64 v[24:25], v[162:163], v[30:31]
	v_add_f64 v[28:29], v[182:183], v[36:37]
	v_mul_f64 v[172:173], v[131:132], s[28:29]
	v_fma_f64 v[200:201], v[66:67], s[42:43], v[202:203]
	v_add_f64 v[48:49], v[238:239], v[48:49]
	v_fma_f64 v[66:67], v[66:67], s[44:45], v[119:120]
	v_add_f64 v[38:39], v[64:65], v[38:39]
	;; [unrolled: 2-line block ×3, first 2 shown]
	v_add_f64 v[84:85], v[97:98], v[105:106]
	v_add_f64 v[95:96], v[99:100], v[149:150]
	;; [unrolled: 1-line block ×4, first 2 shown]
	v_fma_f64 v[60:61], v[74:75], s[28:29], v[164:165]
	v_add_f64 v[86:87], v[86:87], v[26:27]
	v_add_f64 v[88:89], v[147:148], -v[88:89]
	v_add_f64 v[20:21], v[82:83], v[20:21]
	v_fma_f64 v[30:31], v[68:69], s[44:45], v[155:156]
	v_add_f64 v[36:37], v[180:181], v[133:134]
	v_add_f64 v[62:63], v[90:91], v[62:63]
	;; [unrolled: 1-line block ×3, first 2 shown]
	v_add_f64 v[90:91], v[123:124], -v[107:108]
	v_add_f64 v[44:45], v[44:45], v[22:23]
	v_fma_f64 v[164:165], v[74:75], s[28:29], -v[164:165]
	v_fma_f64 v[115:116], v[68:69], s[42:43], v[151:152]
	v_fma_f64 v[72:73], v[68:69], s[22:23], v[52:53]
	v_fma_f64 v[76:77], v[74:75], s[20:21], -v[78:79]
	v_add_f64 v[24:25], v[93:94], v[24:25]
	v_fma_f64 v[70:71], v[74:75], s[8:9], -v[174:175]
	v_add_f64 v[28:29], v[42:43], v[28:29]
	v_fma_f64 v[145:146], v[74:75], s[24:25], v[170:171]
	v_fma_f64 v[151:152], v[68:69], s[18:19], v[151:152]
	v_fma_f64 v[170:171], v[74:75], s[24:25], -v[170:171]
	v_fma_f64 v[101:102], v[68:69], s[30:31], v[172:173]
	v_fma_f64 v[172:173], v[68:69], s[34:35], v[172:173]
	v_add_f64 v[48:49], v[200:201], v[48:49]
	v_fma_f64 v[143:144], v[68:69], s[6:7], v[155:156]
	v_fma_f64 v[82:83], v[74:75], s[8:9], v[174:175]
	v_add_f64 v[50:51], v[117:118], v[50:51]
	v_fma_f64 v[52:53], v[68:69], s[16:17], v[52:53]
	v_add_f64 v[66:67], v[66:67], v[38:39]
	;; [unrolled: 2-line block ×3, first 2 shown]
	v_add_f64 v[10:11], v[97:98], v[10:11]
	v_add_f64 v[8:9], v[99:100], v[8:9]
	;; [unrolled: 1-line block ×22, first 2 shown]
	v_and_b32_e32 v52, 0xffff, v160
	v_add_lshl_u32 v52, v161, v52, 4
	ds_write_b128 v52, v[8:11]
	ds_write_b128 v52, v[40:43] offset:16
	ds_write_b128 v52, v[36:39] offset:32
	;; [unrolled: 1-line block ×12, first 2 shown]
.LBB0_7:
	s_or_b32 exec_lo, exec_lo, s33
	v_mul_u32_u24_e32 v8, 10, v158
	s_load_dwordx4 s[4:7], s[2:3], 0x0
	s_waitcnt lgkmcnt(0)
	s_barrier
	buffer_gl0_inv
	v_lshlrev_b32_e32 v68, 4, v8
	v_add_lshl_u32 v145, v161, v158, 4
	s_mov_b32 s24, 0xf8bb580b
	s_mov_b32 s16, 0x43842ef
	;; [unrolled: 1-line block ×3, first 2 shown]
	s_clause 0x5
	global_load_dwordx4 v[28:31], v68, s[0:1]
	global_load_dwordx4 v[16:19], v68, s[0:1] offset:16
	global_load_dwordx4 v[12:15], v68, s[0:1] offset:32
	;; [unrolled: 1-line block ×5, first 2 shown]
	ds_read_b128 v[32:35], v145 offset:208
	ds_read_b128 v[36:39], v145 offset:416
	;; [unrolled: 1-line block ×3, first 2 shown]
	ds_read_b128 v[48:51], v145
	ds_read_b128 v[44:47], v145 offset:832
	s_mov_b32 s26, 0xfd768dbf
	s_mov_b32 s25, 0xbfe14ced
	;; [unrolled: 1-line block ×21, first 2 shown]
	s_waitcnt vmcnt(5) lgkmcnt(4)
	v_mul_f64 v[52:53], v[34:35], v[30:31]
	v_mul_f64 v[54:55], v[32:33], v[30:31]
	s_waitcnt vmcnt(4) lgkmcnt(3)
	v_mul_f64 v[56:57], v[38:39], v[18:19]
	v_mul_f64 v[58:59], v[36:37], v[18:19]
	;; [unrolled: 3-line block ×3, first 2 shown]
	v_fma_f64 v[64:65], v[32:33], v[28:29], -v[52:53]
	v_fma_f64 v[66:67], v[34:35], v[28:29], v[54:55]
	ds_read_b128 v[32:35], v145 offset:1040
	v_fma_f64 v[88:89], v[36:37], v[16:17], -v[56:57]
	v_fma_f64 v[90:91], v[38:39], v[16:17], v[58:59]
	s_waitcnt vmcnt(2) lgkmcnt(1)
	v_mul_f64 v[36:37], v[46:47], v[10:11]
	v_mul_f64 v[38:39], v[44:45], v[10:11]
	v_fma_f64 v[93:94], v[40:41], v[12:13], -v[60:61]
	v_fma_f64 v[95:96], v[42:43], v[12:13], v[62:63]
	s_waitcnt vmcnt(1) lgkmcnt(0)
	v_mul_f64 v[40:41], v[34:35], v[22:23]
	v_mul_f64 v[42:43], v[32:33], v[22:23]
	v_add_f64 v[125:126], v[48:49], v[64:65]
	v_add_f64 v[127:128], v[50:51], v[66:67]
	v_fma_f64 v[97:98], v[44:45], v[8:9], -v[36:37]
	v_fma_f64 v[99:100], v[46:47], v[8:9], v[38:39]
	ds_read_b128 v[36:39], v145 offset:1248
	v_fma_f64 v[101:102], v[32:33], v[20:21], -v[40:41]
	v_fma_f64 v[103:104], v[34:35], v[20:21], v[42:43]
	ds_read_b128 v[40:43], v145 offset:1456
	s_waitcnt vmcnt(0) lgkmcnt(1)
	v_mul_f64 v[32:33], v[38:39], v[26:27]
	v_fma_f64 v[105:106], v[36:37], v[24:25], -v[32:33]
	v_mul_f64 v[32:33], v[36:37], v[26:27]
	v_add_f64 v[175:176], v[101:102], v[105:106]
	v_fma_f64 v[107:108], v[38:39], v[24:25], v[32:33]
	s_clause 0x1
	global_load_dwordx4 v[32:35], v68, s[0:1] offset:96
	global_load_dwordx4 v[36:39], v68, s[0:1] offset:112
	v_add_f64 v[179:180], v[101:102], -v[105:106]
	v_add_f64 v[173:174], v[103:104], -v[107:108]
	v_add_f64 v[181:182], v[103:104], v[107:108]
	v_mul_f64 v[177:178], v[173:174], s[26:27]
	s_waitcnt vmcnt(1) lgkmcnt(0)
	v_mul_f64 v[44:45], v[42:43], v[34:35]
	v_fma_f64 v[109:110], v[40:41], v[32:33], -v[44:45]
	v_mul_f64 v[40:41], v[40:41], v[34:35]
	v_add_f64 v[169:170], v[97:98], -v[109:110]
	v_fma_f64 v[111:112], v[42:43], v[32:33], v[40:41]
	ds_read_b128 v[40:43], v145 offset:1664
	ds_read_b128 v[52:55], v145 offset:1872
	s_waitcnt vmcnt(0) lgkmcnt(1)
	v_mul_f64 v[44:45], v[42:43], v[38:39]
	v_mul_f64 v[171:172], v[169:170], s[20:21]
	v_add_f64 v[165:166], v[99:100], -v[111:112]
	v_add_f64 v[143:144], v[99:100], v[111:112]
	v_fma_f64 v[113:114], v[40:41], v[36:37], -v[44:45]
	v_mul_f64 v[40:41], v[40:41], v[38:39]
	v_mul_f64 v[167:168], v[165:166], s[20:21]
	v_add_f64 v[161:162], v[93:94], -v[113:114]
	v_fma_f64 v[115:116], v[42:43], v[36:37], v[40:41]
	s_clause 0x1
	global_load_dwordx4 v[40:43], v68, s[0:1] offset:128
	global_load_dwordx4 v[44:47], v68, s[0:1] offset:144
	s_mov_b32 s0, 0x640f44db
	s_mov_b32 s1, 0xbfc2375f
	v_mul_f64 v[163:164], v[161:162], s[16:17]
	v_add_f64 v[154:155], v[95:96], -v[115:116]
	s_waitcnt vmcnt(1) lgkmcnt(0)
	v_mul_f64 v[56:57], v[54:55], v[42:43]
	v_fma_f64 v[117:118], v[52:53], v[40:41], -v[56:57]
	v_mul_f64 v[52:53], v[52:53], v[42:43]
	v_fma_f64 v[119:120], v[54:55], v[40:41], v[52:53]
	ds_read_b128 v[52:55], v145 offset:2080
	s_waitcnt vmcnt(0) lgkmcnt(0)
	v_mul_f64 v[56:57], v[52:53], v[46:47]
	v_fma_f64 v[121:122], v[54:55], v[44:45], v[56:57]
	v_mul_f64 v[54:55], v[54:55], v[46:47]
	v_add_f64 v[86:87], v[66:67], v[121:122]
	v_fma_f64 v[123:124], v[52:53], v[44:45], -v[54:55]
	v_add_f64 v[52:53], v[66:67], -v[121:122]
	v_add_f64 v[62:63], v[64:65], v[123:124]
	v_mul_f64 v[54:55], v[52:53], s[24:25]
	v_mul_f64 v[56:57], v[52:53], s[18:19]
	;; [unrolled: 1-line block ×5, first 2 shown]
	v_fma_f64 v[68:69], v[62:63], s[8:9], -v[54:55]
	v_fma_f64 v[54:55], v[62:63], s[8:9], v[54:55]
	v_fma_f64 v[70:71], v[62:63], s[2:3], -v[56:57]
	v_fma_f64 v[56:57], v[62:63], s[2:3], v[56:57]
	v_fma_f64 v[72:73], v[62:63], s[0:1], -v[58:59]
	v_fma_f64 v[58:59], v[62:63], s[0:1], v[58:59]
	v_fma_f64 v[74:75], v[62:63], s[10:11], -v[60:61]
	v_fma_f64 v[60:61], v[62:63], s[10:11], v[60:61]
	v_fma_f64 v[80:81], v[62:63], s[22:23], -v[52:53]
	v_fma_f64 v[62:63], v[62:63], s[22:23], v[52:53]
	v_add_f64 v[52:53], v[64:65], -v[123:124]
	v_add_f64 v[139:140], v[48:49], v[68:69]
	v_add_f64 v[146:147], v[48:49], v[54:55]
	;; [unrolled: 1-line block ×6, first 2 shown]
	v_mul_f64 v[82:83], v[52:53], s[16:17]
	v_mul_f64 v[76:77], v[52:53], s[24:25]
	;; [unrolled: 1-line block ×5, first 2 shown]
	v_fma_f64 v[133:134], v[86:87], s[0:1], v[82:83]
	v_fma_f64 v[129:130], v[86:87], s[8:9], v[76:77]
	v_fma_f64 v[76:77], v[86:87], s[8:9], -v[76:77]
	v_fma_f64 v[131:132], v[86:87], s[2:3], v[78:79]
	v_fma_f64 v[78:79], v[86:87], s[2:3], -v[78:79]
	v_fma_f64 v[82:83], v[86:87], s[0:1], -v[82:83]
	v_fma_f64 v[135:136], v[86:87], s[10:11], v[84:85]
	v_fma_f64 v[84:85], v[86:87], s[10:11], -v[84:85]
	v_fma_f64 v[137:138], v[86:87], s[22:23], v[52:53]
	v_fma_f64 v[86:87], v[86:87], s[22:23], -v[52:53]
	v_add_f64 v[68:69], v[50:51], v[133:134]
	v_add_f64 v[133:134], v[90:91], -v[119:120]
	v_add_f64 v[141:142], v[50:51], v[129:130]
	v_add_f64 v[148:149], v[50:51], v[76:77]
	;; [unrolled: 1-line block ×11, first 2 shown]
	v_add_f64 v[135:136], v[88:89], -v[117:118]
	v_add_f64 v[152:153], v[50:51], v[131:132]
	v_add_f64 v[80:81], v[50:51], v[137:138]
	v_add_f64 v[86:87], v[50:51], v[86:87]
	v_add_f64 v[131:132], v[90:91], v[119:120]
	v_add_f64 v[137:138], v[93:94], v[113:114]
	v_mul_f64 v[62:63], v[154:155], s[16:17]
	v_add_f64 v[88:89], v[125:126], v[88:89]
	v_add_f64 v[90:91], v[127:128], v[90:91]
	v_mul_f64 v[48:49], v[133:134], s[18:19]
	v_mul_f64 v[60:61], v[135:136], s[18:19]
	s_mov_b32 s19, 0x3fed1bb4
	v_fma_f64 v[58:59], v[137:138], s[0:1], -v[62:63]
	v_fma_f64 v[62:63], v[137:138], s[0:1], v[62:63]
	v_add_f64 v[88:89], v[88:89], v[93:94]
	v_add_f64 v[90:91], v[90:91], v[95:96]
	v_fma_f64 v[50:51], v[129:130], s[2:3], -v[48:49]
	v_fma_f64 v[48:49], v[129:130], s[2:3], v[48:49]
	v_fma_f64 v[56:57], v[131:132], s[2:3], v[60:61]
	v_fma_f64 v[60:61], v[131:132], s[2:3], -v[60:61]
	v_add_f64 v[88:89], v[88:89], v[97:98]
	v_add_f64 v[90:91], v[90:91], v[99:100]
	;; [unrolled: 1-line block ×5, first 2 shown]
	v_mul_f64 v[146:147], v[133:134], s[20:21]
	v_add_f64 v[56:57], v[56:57], v[141:142]
	v_add_f64 v[141:142], v[97:98], v[109:110]
	;; [unrolled: 1-line block ×3, first 2 shown]
	v_mul_f64 v[148:149], v[135:136], s[20:21]
	v_add_f64 v[88:89], v[88:89], v[101:102]
	v_add_f64 v[90:91], v[90:91], v[103:104]
	;; [unrolled: 1-line block ×3, first 2 shown]
	v_fma_f64 v[58:59], v[139:140], s[0:1], v[163:164]
	v_add_f64 v[48:49], v[62:63], v[48:49]
	v_fma_f64 v[62:63], v[139:140], s[0:1], -v[163:164]
	v_add_f64 v[88:89], v[88:89], v[105:106]
	v_add_f64 v[90:91], v[90:91], v[107:108]
	v_add_f64 v[56:57], v[58:59], v[56:57]
	v_fma_f64 v[58:59], v[141:142], s[10:11], -v[167:168]
	v_add_f64 v[60:61], v[62:63], v[60:61]
	v_fma_f64 v[62:63], v[141:142], s[10:11], v[167:168]
	v_add_f64 v[88:89], v[88:89], v[109:110]
	v_add_f64 v[90:91], v[90:91], v[111:112]
	;; [unrolled: 1-line block ×3, first 2 shown]
	v_fma_f64 v[58:59], v[143:144], s[10:11], v[171:172]
	v_add_f64 v[48:49], v[62:63], v[48:49]
	v_fma_f64 v[62:63], v[143:144], s[10:11], -v[171:172]
	v_add_f64 v[88:89], v[88:89], v[113:114]
	v_add_f64 v[90:91], v[90:91], v[115:116]
	;; [unrolled: 1-line block ×3, first 2 shown]
	v_fma_f64 v[56:57], v[175:176], s[22:23], -v[177:178]
	v_add_f64 v[60:61], v[62:63], v[60:61]
	v_fma_f64 v[62:63], v[175:176], s[22:23], v[177:178]
	v_add_f64 v[88:89], v[88:89], v[117:118]
	v_add_f64 v[90:91], v[90:91], v[119:120]
	;; [unrolled: 1-line block ×3, first 2 shown]
	v_mul_f64 v[50:51], v[179:180], s[26:27]
	v_add_f64 v[48:49], v[62:63], v[48:49]
	v_fma_f64 v[62:63], v[131:132], s[10:11], v[148:149]
	v_add_f64 v[88:89], v[88:89], v[123:124]
	v_add_f64 v[90:91], v[90:91], v[121:122]
	v_fma_f64 v[183:184], v[181:182], s[22:23], v[50:51]
	v_fma_f64 v[50:51], v[181:182], s[22:23], -v[50:51]
	v_add_f64 v[62:63], v[62:63], v[152:153]
	v_add_f64 v[58:59], v[183:184], v[58:59]
	;; [unrolled: 1-line block ×3, first 2 shown]
	v_fma_f64 v[60:61], v[129:130], s[10:11], -v[146:147]
	v_fma_f64 v[146:147], v[129:130], s[10:11], v[146:147]
	v_add_f64 v[60:61], v[60:61], v[150:151]
	v_mul_f64 v[150:151], v[154:155], s[34:35]
	v_add_f64 v[54:55], v[146:147], v[54:55]
	v_fma_f64 v[146:147], v[131:132], s[10:11], -v[148:149]
	v_fma_f64 v[152:153], v[137:138], s[22:23], -v[150:151]
	v_add_f64 v[52:53], v[146:147], v[52:53]
	v_fma_f64 v[146:147], v[137:138], s[22:23], v[150:151]
	v_add_f64 v[60:61], v[152:153], v[60:61]
	v_mul_f64 v[152:153], v[161:162], s[34:35]
	v_add_f64 v[54:55], v[146:147], v[54:55]
	v_fma_f64 v[163:164], v[139:140], s[22:23], v[152:153]
	v_fma_f64 v[146:147], v[139:140], s[22:23], -v[152:153]
	v_add_f64 v[62:63], v[163:164], v[62:63]
	v_mul_f64 v[163:164], v[165:166], s[30:31]
	v_add_f64 v[52:53], v[146:147], v[52:53]
	v_fma_f64 v[167:168], v[141:142], s[0:1], -v[163:164]
	v_fma_f64 v[146:147], v[141:142], s[0:1], v[163:164]
	v_add_f64 v[60:61], v[167:168], v[60:61]
	v_mul_f64 v[167:168], v[169:170], s[30:31]
	v_add_f64 v[54:55], v[146:147], v[54:55]
	v_fma_f64 v[171:172], v[143:144], s[0:1], v[167:168]
	v_fma_f64 v[146:147], v[143:144], s[0:1], -v[167:168]
	v_add_f64 v[62:63], v[171:172], v[62:63]
	v_mul_f64 v[171:172], v[173:174], s[28:29]
	v_add_f64 v[146:147], v[146:147], v[52:53]
	v_fma_f64 v[177:178], v[175:176], s[8:9], -v[171:172]
	v_fma_f64 v[52:53], v[175:176], s[8:9], v[171:172]
	v_add_f64 v[60:61], v[177:178], v[60:61]
	v_mul_f64 v[177:178], v[179:180], s[28:29]
	v_add_f64 v[52:53], v[52:53], v[54:55]
	v_fma_f64 v[148:149], v[181:182], s[8:9], -v[177:178]
	v_fma_f64 v[183:184], v[181:182], s[8:9], v[177:178]
	v_mul_f64 v[177:178], v[173:174], s[20:21]
	v_add_f64 v[54:55], v[148:149], v[146:147]
	v_mul_f64 v[146:147], v[133:134], s[34:35]
	v_add_f64 v[62:63], v[183:184], v[62:63]
	v_mul_f64 v[183:184], v[179:180], s[20:21]
	v_fma_f64 v[148:149], v[129:130], s[22:23], -v[146:147]
	v_fma_f64 v[146:147], v[129:130], s[22:23], v[146:147]
	v_add_f64 v[70:71], v[148:149], v[70:71]
	v_mul_f64 v[148:149], v[135:136], s[34:35]
	v_add_f64 v[66:67], v[146:147], v[66:67]
	v_fma_f64 v[150:151], v[131:132], s[22:23], v[148:149]
	v_fma_f64 v[146:147], v[131:132], s[22:23], -v[148:149]
	v_fma_f64 v[148:149], v[181:182], s[10:11], -v[183:184]
	v_add_f64 v[68:69], v[150:151], v[68:69]
	v_mul_f64 v[150:151], v[154:155], s[18:19]
	v_add_f64 v[64:65], v[146:147], v[64:65]
	v_fma_f64 v[152:153], v[137:138], s[2:3], -v[150:151]
	v_fma_f64 v[146:147], v[137:138], s[2:3], v[150:151]
	v_add_f64 v[70:71], v[152:153], v[70:71]
	v_mul_f64 v[152:153], v[161:162], s[18:19]
	v_add_f64 v[66:67], v[146:147], v[66:67]
	v_fma_f64 v[163:164], v[139:140], s[2:3], v[152:153]
	v_fma_f64 v[146:147], v[139:140], s[2:3], -v[152:153]
	v_add_f64 v[68:69], v[163:164], v[68:69]
	v_mul_f64 v[163:164], v[165:166], s[24:25]
	v_add_f64 v[64:65], v[146:147], v[64:65]
	v_fma_f64 v[167:168], v[141:142], s[8:9], -v[163:164]
	v_fma_f64 v[146:147], v[141:142], s[8:9], v[163:164]
	v_add_f64 v[70:71], v[167:168], v[70:71]
	v_mul_f64 v[167:168], v[169:170], s[24:25]
	v_add_f64 v[66:67], v[146:147], v[66:67]
	v_fma_f64 v[146:147], v[143:144], s[8:9], -v[167:168]
	v_fma_f64 v[171:172], v[143:144], s[8:9], v[167:168]
	v_add_f64 v[146:147], v[146:147], v[64:65]
	v_fma_f64 v[64:65], v[175:176], s[10:11], v[177:178]
	v_add_f64 v[171:172], v[171:172], v[68:69]
	v_fma_f64 v[68:69], v[175:176], s[10:11], -v[177:178]
	v_mul_f64 v[177:178], v[173:174], s[18:19]
	v_add_f64 v[64:65], v[64:65], v[66:67]
	v_add_f64 v[66:67], v[148:149], v[146:147]
	v_mul_f64 v[146:147], v[133:134], s[30:31]
	v_add_f64 v[68:69], v[68:69], v[70:71]
	v_fma_f64 v[70:71], v[181:182], s[10:11], v[183:184]
	v_mul_f64 v[183:184], v[179:180], s[18:19]
	v_mul_f64 v[133:134], v[133:134], s[28:29]
	v_fma_f64 v[148:149], v[129:130], s[0:1], -v[146:147]
	v_fma_f64 v[146:147], v[129:130], s[0:1], v[146:147]
	v_add_f64 v[70:71], v[70:71], v[171:172]
	v_add_f64 v[78:79], v[148:149], v[78:79]
	v_mul_f64 v[148:149], v[135:136], s[30:31]
	v_add_f64 v[74:75], v[146:147], v[74:75]
	v_mul_f64 v[135:136], v[135:136], s[28:29]
	v_fma_f64 v[150:151], v[131:132], s[0:1], v[148:149]
	v_fma_f64 v[146:147], v[131:132], s[0:1], -v[148:149]
	v_fma_f64 v[148:149], v[181:182], s[2:3], -v[183:184]
	v_add_f64 v[76:77], v[150:151], v[76:77]
	v_mul_f64 v[150:151], v[154:155], s[24:25]
	v_add_f64 v[72:73], v[146:147], v[72:73]
	v_fma_f64 v[152:153], v[137:138], s[8:9], -v[150:151]
	v_fma_f64 v[146:147], v[137:138], s[8:9], v[150:151]
	v_add_f64 v[78:79], v[152:153], v[78:79]
	v_mul_f64 v[152:153], v[161:162], s[24:25]
	v_add_f64 v[74:75], v[146:147], v[74:75]
	v_fma_f64 v[163:164], v[139:140], s[8:9], v[152:153]
	v_fma_f64 v[146:147], v[139:140], s[8:9], -v[152:153]
	v_add_f64 v[76:77], v[163:164], v[76:77]
	v_mul_f64 v[163:164], v[165:166], s[26:27]
	v_add_f64 v[72:73], v[146:147], v[72:73]
	v_fma_f64 v[167:168], v[141:142], s[22:23], -v[163:164]
	v_fma_f64 v[146:147], v[141:142], s[22:23], v[163:164]
	v_mul_f64 v[163:164], v[179:180], s[16:17]
	v_add_f64 v[78:79], v[167:168], v[78:79]
	v_mul_f64 v[167:168], v[169:170], s[26:27]
	v_add_f64 v[74:75], v[146:147], v[74:75]
	v_fma_f64 v[146:147], v[143:144], s[22:23], -v[167:168]
	v_fma_f64 v[171:172], v[143:144], s[22:23], v[167:168]
	v_add_f64 v[146:147], v[146:147], v[72:73]
	v_fma_f64 v[72:73], v[175:176], s[2:3], v[177:178]
	v_add_f64 v[171:172], v[171:172], v[76:77]
	v_fma_f64 v[76:77], v[175:176], s[2:3], -v[177:178]
	v_add_f64 v[72:73], v[72:73], v[74:75]
	v_add_f64 v[74:75], v[148:149], v[146:147]
	v_fma_f64 v[146:147], v[129:130], s[8:9], -v[133:134]
	v_fma_f64 v[129:130], v[129:130], s[8:9], v[133:134]
	v_add_f64 v[76:77], v[76:77], v[78:79]
	v_fma_f64 v[78:79], v[181:182], s[2:3], v[183:184]
	v_add_f64 v[82:83], v[146:147], v[82:83]
	v_fma_f64 v[146:147], v[131:132], s[8:9], v[135:136]
	v_fma_f64 v[131:132], v[131:132], s[8:9], -v[135:136]
	v_add_f64 v[84:85], v[129:130], v[84:85]
	v_add_f64 v[78:79], v[78:79], v[171:172]
	v_add_f64 v[80:81], v[146:147], v[80:81]
	v_mul_f64 v[146:147], v[154:155], s[20:21]
	v_add_f64 v[86:87], v[131:132], v[86:87]
	v_fma_f64 v[148:149], v[137:138], s[10:11], -v[146:147]
	v_fma_f64 v[133:134], v[137:138], s[10:11], v[146:147]
	v_add_f64 v[82:83], v[148:149], v[82:83]
	v_mul_f64 v[148:149], v[161:162], s[20:21]
	v_mul_f64 v[161:162], v[173:174], s[16:17]
	v_add_f64 v[84:85], v[133:134], v[84:85]
	v_fma_f64 v[150:151], v[139:140], s[10:11], v[148:149]
	v_fma_f64 v[135:136], v[139:140], s[10:11], -v[148:149]
	v_fma_f64 v[133:134], v[175:176], s[0:1], v[161:162]
	v_add_f64 v[80:81], v[150:151], v[80:81]
	v_mul_f64 v[150:151], v[165:166], s[18:19]
	v_add_f64 v[86:87], v[135:136], v[86:87]
	v_fma_f64 v[135:136], v[181:182], s[0:1], -v[163:164]
	v_fma_f64 v[152:153], v[141:142], s[2:3], -v[150:151]
	v_fma_f64 v[129:130], v[141:142], s[2:3], v[150:151]
	v_lshl_add_u32 v141, v158, 4, v159
	v_add_f64 v[82:83], v[152:153], v[82:83]
	v_mul_f64 v[152:153], v[169:170], s[18:19]
	v_add_f64 v[84:85], v[129:130], v[84:85]
	v_fma_f64 v[154:155], v[143:144], s[2:3], v[152:153]
	v_fma_f64 v[131:132], v[143:144], s[2:3], -v[152:153]
	v_add_f64 v[84:85], v[133:134], v[84:85]
	v_add_f64 v[154:155], v[154:155], v[80:81]
	v_fma_f64 v[80:81], v[175:176], s[0:1], -v[161:162]
	v_add_f64 v[86:87], v[131:132], v[86:87]
	v_add_f64 v[80:81], v[80:81], v[82:83]
	v_fma_f64 v[82:83], v[181:182], s[0:1], v[163:164]
	v_add_f64 v[86:87], v[135:136], v[86:87]
	v_add_f64 v[82:83], v[82:83], v[154:155]
	ds_write_b128 v141, v[56:59] offset:208
	ds_write_b128 v141, v[60:63] offset:416
	;; [unrolled: 1-line block ×10, first 2 shown]
	ds_write_b128 v141, v[88:91]
	s_waitcnt lgkmcnt(0)
	s_barrier
	buffer_gl0_inv
	s_and_saveexec_b32 s1, vcc_lo
	s_cbranch_execz .LBB0_9
; %bb.8:
	v_add_co_u32 v125, s0, s12, v157
	v_add_co_ci_u32_e64 v133, null, s13, 0, s0
	v_add_co_u32 v93, s0, 0x800, v125
	v_add_co_ci_u32_e64 v94, s0, 0, v133, s0
	v_add_co_u32 v137, s0, 0x8f0, v125
	v_add_co_ci_u32_e64 v138, s0, 0, v133, s0
	v_add_co_u32 v142, s0, 0x1000, v125
	s_clause 0x9
	global_load_dwordx4 v[93:96], v[93:94], off offset:240
	global_load_dwordx4 v[97:100], v[137:138], off offset:176
	;; [unrolled: 1-line block ×10, first 2 shown]
	v_add_co_ci_u32_e64 v143, s0, 0, v133, s0
	s_clause 0x2
	global_load_dwordx4 v[133:136], v[137:138], off offset:1760
	global_load_dwordx4 v[137:140], v[137:138], off offset:1936
	;; [unrolled: 1-line block ×3, first 2 shown]
	ds_read_b128 v[150:153], v141
	ds_read_b128 v[161:164], v141 offset:176
	ds_read_b128 v[165:168], v141 offset:352
	;; [unrolled: 1-line block ×12, first 2 shown]
	s_waitcnt vmcnt(12) lgkmcnt(12)
	v_mul_f64 v[142:143], v[152:153], v[95:96]
	v_mul_f64 v[95:96], v[150:151], v[95:96]
	s_waitcnt vmcnt(11) lgkmcnt(11)
	v_mul_f64 v[154:155], v[163:164], v[99:100]
	v_mul_f64 v[99:100], v[161:162], v[99:100]
	;; [unrolled: 3-line block ×13, first 2 shown]
	v_fma_f64 v[148:149], v[150:151], v[93:94], -v[142:143]
	v_fma_f64 v[150:151], v[152:153], v[93:94], v[95:96]
	v_fma_f64 v[93:94], v[161:162], v[97:98], -v[154:155]
	v_fma_f64 v[95:96], v[163:164], v[97:98], v[99:100]
	v_fma_f64 v[97:98], v[165:166], v[101:102], -v[209:210]
	v_fma_f64 v[99:100], v[167:168], v[101:102], v[103:104]
	v_fma_f64 v[101:102], v[169:170], v[105:106], -v[211:212]
	v_fma_f64 v[103:104], v[171:172], v[105:106], v[107:108]
	v_fma_f64 v[105:106], v[173:174], v[109:110], -v[213:214]
	v_fma_f64 v[107:108], v[175:176], v[109:110], v[111:112]
	v_fma_f64 v[109:110], v[177:178], v[113:114], -v[215:216]
	v_fma_f64 v[111:112], v[179:180], v[113:114], v[115:116]
	v_fma_f64 v[113:114], v[181:182], v[117:118], -v[217:218]
	v_fma_f64 v[115:116], v[183:184], v[117:118], v[119:120]
	v_fma_f64 v[117:118], v[185:186], v[121:122], -v[219:220]
	v_fma_f64 v[119:120], v[187:188], v[121:122], v[123:124]
	v_fma_f64 v[121:122], v[189:190], v[125:126], -v[221:222]
	v_fma_f64 v[123:124], v[191:192], v[125:126], v[127:128]
	v_fma_f64 v[125:126], v[193:194], v[129:130], -v[223:224]
	v_fma_f64 v[127:128], v[195:196], v[129:130], v[131:132]
	v_fma_f64 v[129:130], v[197:198], v[133:134], -v[225:226]
	v_fma_f64 v[131:132], v[199:200], v[133:134], v[135:136]
	v_fma_f64 v[133:134], v[201:202], v[137:138], -v[227:228]
	v_fma_f64 v[135:136], v[203:204], v[137:138], v[139:140]
	v_fma_f64 v[137:138], v[205:206], v[146:147], -v[229:230]
	v_fma_f64 v[139:140], v[207:208], v[146:147], v[231:232]
	ds_write_b128 v141, v[148:151]
	ds_write_b128 v141, v[93:96] offset:176
	ds_write_b128 v141, v[97:100] offset:352
	;; [unrolled: 1-line block ×12, first 2 shown]
.LBB0_9:
	s_or_b32 exec_lo, exec_lo, s1
	s_waitcnt lgkmcnt(0)
	s_barrier
	buffer_gl0_inv
	s_and_saveexec_b32 s0, vcc_lo
	s_cbranch_execz .LBB0_11
; %bb.10:
	ds_read_b128 v[88:91], v141
	ds_read_b128 v[56:59], v141 offset:176
	ds_read_b128 v[60:63], v141 offset:352
	;; [unrolled: 1-line block ×12, first 2 shown]
.LBB0_11:
	s_or_b32 exec_lo, exec_lo, s0
	s_waitcnt lgkmcnt(0)
	s_barrier
	buffer_gl0_inv
	s_and_saveexec_b32 s33, vcc_lo
	s_cbranch_execz .LBB0_13
; %bb.12:
	v_add_f64 v[105:106], v[56:57], -v[0:1]
	v_add_f64 v[125:126], v[58:59], -v[2:3]
	s_mov_b32 s8, 0x4bc48dbf
	s_mov_b32 s9, 0xbfcea1e5
	v_add_f64 v[123:124], v[60:61], -v[4:5]
	v_add_f64 v[121:122], v[62:63], -v[6:7]
	v_add_f64 v[113:114], v[58:59], v[2:3]
	v_add_f64 v[111:112], v[56:57], v[0:1]
	s_mov_b32 s0, 0x93053d00
	s_mov_b32 s29, 0x3fddbe06
	;; [unrolled: 1-line block ×4, first 2 shown]
	v_add_f64 v[115:116], v[68:69], -v[48:49]
	v_add_f64 v[107:108], v[62:63], v[6:7]
	v_add_f64 v[119:120], v[70:71], -v[50:51]
	v_add_f64 v[109:110], v[60:61], v[4:5]
	s_mov_b32 s18, 0x24c2f84
	s_mov_b32 s22, 0xe00740e9
	;; [unrolled: 1-line block ×4, first 2 shown]
	v_add_f64 v[103:104], v[76:77], -v[52:53]
	v_add_f64 v[133:134], v[70:71], v[50:51]
	v_mul_f64 v[117:118], v[105:106], s[8:9]
	v_mul_f64 v[127:128], v[125:126], s[8:9]
	;; [unrolled: 1-line block ×6, first 2 shown]
	v_add_f64 v[139:140], v[78:79], -v[54:55]
	v_add_f64 v[135:136], v[68:69], v[48:49]
	s_mov_b32 s16, 0x66966769
	s_mov_b32 s30, 0x42a4c3d2
	;; [unrolled: 1-line block ×4, first 2 shown]
	v_mul_f64 v[150:151], v[115:116], s[18:19]
	s_mov_b32 s31, 0x3fea55e2
	v_mul_f64 v[152:153], v[119:120], s[18:19]
	s_mov_b32 s25, 0xbfe7f3cc
	v_add_f64 v[101:102], v[80:81], -v[64:65]
	v_add_f64 v[99:100], v[78:79], v[54:55]
	v_mul_f64 v[154:155], v[123:124], s[16:17]
	v_mul_f64 v[161:162], v[121:122], s[16:17]
	;; [unrolled: 1-line block ×3, first 2 shown]
	s_mov_b32 s2, 0xebaa3ed8
	v_fma_f64 v[137:138], v[113:114], s[0:1], v[117:118]
	v_fma_f64 v[148:149], v[111:112], s[0:1], -v[127:128]
	v_fma_f64 v[117:118], v[113:114], s[0:1], -v[117:118]
	v_fma_f64 v[127:128], v[111:112], s[0:1], v[127:128]
	v_fma_f64 v[163:164], v[107:108], s[22:23], v[129:130]
	v_fma_f64 v[165:166], v[109:110], s[22:23], -v[131:132]
	v_fma_f64 v[129:130], v[107:108], s[22:23], -v[129:130]
	v_fma_f64 v[167:168], v[109:110], s[22:23], v[131:132]
	v_fma_f64 v[169:170], v[113:114], s[24:25], v[142:143]
	v_fma_f64 v[171:172], v[111:112], s[24:25], -v[146:147]
	v_add_f64 v[131:132], v[76:77], v[52:53]
	v_mul_f64 v[181:182], v[139:140], s[30:31]
	v_fma_f64 v[187:188], v[133:134], s[24:25], v[150:151]
	v_fma_f64 v[150:151], v[133:134], s[24:25], -v[150:151]
	v_fma_f64 v[189:190], v[135:136], s[24:25], -v[152:153]
	v_fma_f64 v[152:153], v[135:136], s[24:25], v[152:153]
	s_mov_b32 s20, 0x2ef20147
	s_mov_b32 s26, 0x1ea71119
	;; [unrolled: 1-line block ×6, first 2 shown]
	v_add_f64 v[173:174], v[90:91], v[137:138]
	v_add_f64 v[148:149], v[88:89], v[148:149]
	;; [unrolled: 1-line block ×4, first 2 shown]
	v_add_f64 v[137:138], v[82:83], -v[66:67]
	s_mov_b32 s34, s30
	v_add_f64 v[97:98], v[84:85], -v[72:73]
	v_add_f64 v[95:96], v[82:83], v[66:67]
	v_add_f64 v[127:128], v[86:87], -v[74:75]
	v_mul_f64 v[183:184], v[115:116], s[34:35]
	v_mul_f64 v[185:186], v[119:120], s[34:35]
	v_fma_f64 v[191:192], v[107:108], s[2:3], v[154:155]
	v_fma_f64 v[193:194], v[109:110], s[2:3], -v[161:162]
	v_add_f64 v[169:170], v[90:91], v[169:170]
	v_add_f64 v[171:172], v[88:89], v[171:172]
	v_fma_f64 v[197:198], v[99:100], s[26:27], v[179:180]
	v_fma_f64 v[199:200], v[131:132], s[26:27], -v[181:182]
	v_fma_f64 v[179:180], v[99:100], s[26:27], -v[179:180]
	v_fma_f64 v[181:182], v[131:132], s[26:27], v[181:182]
	s_mov_b32 s10, 0xb2365da1
	s_mov_b32 s11, 0xbfd6b1d8
	;; [unrolled: 1-line block ×3, first 2 shown]
	v_add_f64 v[163:164], v[163:164], v[173:174]
	v_add_f64 v[148:149], v[165:166], v[148:149]
	;; [unrolled: 1-line block ×5, first 2 shown]
	v_mul_f64 v[173:174], v[101:102], s[20:21]
	v_mul_f64 v[175:176], v[137:138], s[20:21]
	s_mov_b32 s40, s8
	v_add_f64 v[93:94], v[86:87], v[74:75]
	v_add_f64 v[117:118], v[84:85], v[72:73]
	v_mul_f64 v[177:178], v[103:104], s[40:41]
	v_mul_f64 v[195:196], v[139:140], s[40:41]
	v_fma_f64 v[201:202], v[133:134], s[26:27], v[183:184]
	v_fma_f64 v[203:204], v[135:136], s[26:27], -v[185:186]
	v_add_f64 v[169:170], v[191:192], v[169:170]
	v_add_f64 v[171:172], v[193:194], v[171:172]
	v_fma_f64 v[142:143], v[113:114], s[24:25], -v[142:143]
	s_mov_b32 s39, 0xbfefc445
	s_mov_b32 s38, s16
	v_mul_f64 v[205:206], v[105:106], s[20:21]
	v_fma_f64 v[146:147], v[111:112], s[24:25], v[146:147]
	v_mul_f64 v[193:194], v[137:138], s[28:29]
	v_add_f64 v[163:164], v[187:188], v[163:164]
	v_add_f64 v[148:149], v[189:190], v[148:149]
	;; [unrolled: 1-line block ×4, first 2 shown]
	v_mul_f64 v[165:166], v[97:98], s[16:17]
	v_mul_f64 v[167:168], v[127:128], s[16:17]
	v_fma_f64 v[207:208], v[95:96], s[10:11], v[173:174]
	v_fma_f64 v[209:210], v[129:130], s[10:11], -v[175:176]
	v_fma_f64 v[173:174], v[95:96], s[10:11], -v[173:174]
	v_fma_f64 v[175:176], v[129:130], s[10:11], v[175:176]
	v_mul_f64 v[189:190], v[101:102], s[28:29]
	v_fma_f64 v[211:212], v[99:100], s[0:1], v[177:178]
	v_fma_f64 v[213:214], v[131:132], s[0:1], -v[195:196]
	v_fma_f64 v[154:155], v[107:108], s[2:3], -v[154:155]
	v_add_f64 v[169:170], v[201:202], v[169:170]
	v_add_f64 v[171:172], v[203:204], v[171:172]
	;; [unrolled: 1-line block ×3, first 2 shown]
	s_mov_b32 s37, 0x3fe5384d
	s_mov_b32 s36, s18
	v_mul_f64 v[201:202], v[105:106], s[38:39]
	v_fma_f64 v[217:218], v[113:114], s[10:11], v[205:206]
	v_fma_f64 v[161:162], v[109:110], s[2:3], v[161:162]
	v_add_f64 v[163:164], v[197:198], v[163:164]
	v_add_f64 v[148:149], v[199:200], v[148:149]
	;; [unrolled: 1-line block ×4, first 2 shown]
	v_mul_f64 v[199:200], v[125:126], s[20:21]
	v_fma_f64 v[203:204], v[93:94], s[2:3], v[165:166]
	v_fma_f64 v[215:216], v[117:118], s[2:3], -v[167:168]
	v_fma_f64 v[165:166], v[93:94], s[2:3], -v[165:166]
	v_fma_f64 v[167:168], v[117:118], s[2:3], v[167:168]
	v_mul_f64 v[181:182], v[123:124], s[36:37]
	v_mul_f64 v[197:198], v[121:122], s[36:37]
	v_add_f64 v[146:147], v[88:89], v[146:147]
	v_fma_f64 v[205:206], v[113:114], s[10:11], -v[205:206]
	v_fma_f64 v[219:220], v[95:96], s[22:23], v[189:190]
	v_fma_f64 v[221:222], v[129:130], s[22:23], -v[193:194]
	v_add_f64 v[169:170], v[211:212], v[169:170]
	v_add_f64 v[171:172], v[213:214], v[171:172]
	;; [unrolled: 1-line block ×5, first 2 shown]
	v_mul_f64 v[179:180], v[115:116], s[28:29]
	v_mul_f64 v[154:155], v[123:124], s[8:9]
	v_add_f64 v[163:164], v[207:208], v[163:164]
	v_add_f64 v[207:208], v[209:210], v[148:149]
	;; [unrolled: 1-line block ×4, first 2 shown]
	v_fma_f64 v[175:176], v[133:134], s[26:27], -v[183:184]
	v_mul_f64 v[183:184], v[125:126], s[38:39]
	v_fma_f64 v[223:224], v[111:112], s[10:11], -v[199:200]
	v_fma_f64 v[199:200], v[111:112], s[10:11], v[199:200]
	v_add_f64 v[217:218], v[90:91], v[217:218]
	v_fma_f64 v[213:214], v[107:108], s[24:25], v[181:182]
	v_fma_f64 v[185:186], v[135:136], s[26:27], v[185:186]
	v_add_f64 v[161:162], v[161:162], v[146:147]
	v_fma_f64 v[181:182], v[107:108], s[24:25], -v[181:182]
	v_add_f64 v[205:206], v[90:91], v[205:206]
	s_mov_b32 s43, 0x3fedeba7
	s_mov_b32 s42, s20
	v_fma_f64 v[177:178], v[99:100], s[0:1], -v[177:178]
	v_add_f64 v[169:170], v[219:220], v[169:170]
	v_add_f64 v[171:172], v[221:222], v[171:172]
	v_mul_f64 v[219:220], v[119:120], s[42:43]
	v_add_f64 v[58:59], v[58:59], v[62:63]
	v_add_f64 v[56:57], v[56:57], v[60:61]
	;; [unrolled: 1-line block ×6, first 2 shown]
	v_mul_f64 v[165:166], v[121:122], s[8:9]
	v_fma_f64 v[167:168], v[111:112], s[2:3], -v[183:184]
	v_fma_f64 v[163:164], v[113:114], s[2:3], v[201:202]
	v_mul_f64 v[203:204], v[119:120], s[28:29]
	v_fma_f64 v[207:208], v[109:110], s[24:25], -v[197:198]
	v_add_f64 v[215:216], v[88:89], v[223:224]
	v_add_f64 v[142:143], v[175:176], v[142:143]
	v_fma_f64 v[197:198], v[109:110], s[24:25], v[197:198]
	v_add_f64 v[199:200], v[88:89], v[199:200]
	v_mul_f64 v[173:174], v[103:104], s[38:39]
	v_fma_f64 v[175:176], v[133:134], s[22:23], v[179:180]
	v_add_f64 v[213:214], v[213:214], v[217:218]
	v_add_f64 v[161:162], v[185:186], v[161:162]
	v_mul_f64 v[185:186], v[115:116], s[42:43]
	v_fma_f64 v[217:218], v[107:108], s[0:1], v[154:155]
	v_mul_f64 v[227:228], v[139:140], s[38:39]
	v_fma_f64 v[62:63], v[133:134], s[22:23], -v[179:180]
	v_add_f64 v[179:180], v[181:182], v[205:206]
	v_fma_f64 v[189:190], v[95:96], s[22:23], -v[189:190]
	v_fma_f64 v[60:61], v[129:130], s[22:23], v[193:194]
	v_add_f64 v[58:59], v[58:59], v[70:71]
	v_add_f64 v[56:57], v[56:57], v[68:69]
	v_fma_f64 v[221:222], v[109:110], s[0:1], -v[165:166]
	v_add_f64 v[167:168], v[88:89], v[167:168]
	v_add_f64 v[163:164], v[90:91], v[163:164]
	v_fma_f64 v[229:230], v[135:136], s[22:23], -v[203:204]
	v_fma_f64 v[181:182], v[135:136], s[22:23], v[203:204]
	v_add_f64 v[207:208], v[207:208], v[215:216]
	v_add_f64 v[142:143], v[177:178], v[142:143]
	v_fma_f64 v[177:178], v[113:114], s[2:3], -v[201:202]
	v_add_f64 v[193:194], v[197:198], v[199:200]
	v_mul_f64 v[199:200], v[139:140], s[28:29]
	v_fma_f64 v[201:202], v[135:136], s[10:11], -v[219:220]
	v_fma_f64 v[195:196], v[131:132], s[0:1], v[195:196]
	v_add_f64 v[175:176], v[175:176], v[213:214]
	v_fma_f64 v[197:198], v[133:134], s[10:11], v[185:186]
	v_mul_f64 v[213:214], v[137:138], s[40:41]
	v_fma_f64 v[215:216], v[131:132], s[2:3], -v[227:228]
	v_fma_f64 v[68:69], v[99:100], s[2:3], -v[173:174]
	v_add_f64 v[62:63], v[62:63], v[179:180]
	v_fma_f64 v[225:226], v[99:100], s[2:3], v[173:174]
	v_fma_f64 v[70:71], v[107:108], s[0:1], -v[154:155]
	v_fma_f64 v[173:174], v[131:132], s[2:3], v[227:228]
	v_add_f64 v[58:59], v[58:59], v[78:79]
	v_add_f64 v[56:57], v[56:57], v[76:77]
	;; [unrolled: 1-line block ×4, first 2 shown]
	v_mul_f64 v[223:224], v[101:102], s[40:41]
	v_fma_f64 v[78:79], v[133:134], s[10:11], -v[185:186]
	v_add_f64 v[207:208], v[229:230], v[207:208]
	v_add_f64 v[142:143], v[189:190], v[142:143]
	;; [unrolled: 1-line block ×4, first 2 shown]
	v_mul_f64 v[189:190], v[137:138], s[34:35]
	v_fma_f64 v[193:194], v[131:132], s[22:23], -v[199:200]
	v_add_f64 v[161:162], v[195:196], v[161:162]
	v_mul_f64 v[195:196], v[103:104], s[28:29]
	v_mul_f64 v[203:204], v[97:98], s[30:31]
	;; [unrolled: 1-line block ×5, first 2 shown]
	v_add_f64 v[62:63], v[68:69], v[62:63]
	v_fma_f64 v[68:69], v[129:130], s[0:1], v[213:214]
	v_add_f64 v[175:176], v[225:226], v[175:176]
	v_mul_f64 v[191:192], v[127:128], s[20:21]
	v_add_f64 v[58:59], v[58:59], v[82:83]
	v_add_f64 v[56:57], v[56:57], v[80:81]
	;; [unrolled: 1-line block ×4, first 2 shown]
	v_fma_f64 v[197:198], v[129:130], s[0:1], -v[213:214]
	v_mul_f64 v[213:214], v[127:128], s[28:29]
	v_add_f64 v[201:202], v[215:216], v[207:208]
	v_mul_f64 v[207:208], v[97:98], s[28:29]
	s_mov_b32 s29, 0xbfddbe06
	v_add_f64 v[70:71], v[70:71], v[154:155]
	v_add_f64 v[154:155], v[173:174], v[177:178]
	v_fma_f64 v[177:178], v[111:112], s[2:3], v[183:184]
	v_fma_f64 v[185:186], v[129:130], s[26:27], -v[189:190]
	v_mul_f64 v[80:81], v[125:126], s[28:29]
	v_mul_f64 v[82:83], v[125:126], s[34:35]
	v_fma_f64 v[205:206], v[95:96], s[0:1], v[223:224]
	v_fma_f64 v[76:77], v[95:96], s[0:1], -v[223:224]
	v_fma_f64 v[125:126], v[109:110], s[0:1], v[165:166]
	v_fma_f64 v[181:182], v[99:100], s[22:23], v[195:196]
	v_add_f64 v[60:61], v[60:61], v[161:162]
	v_fma_f64 v[161:162], v[93:94], s[26:27], v[203:204]
	v_fma_f64 v[195:196], v[99:100], s[22:23], -v[195:196]
	v_add_f64 v[58:59], v[58:59], v[86:87]
	v_add_f64 v[56:57], v[56:57], v[84:85]
	;; [unrolled: 1-line block ×3, first 2 shown]
	v_mul_f64 v[193:194], v[105:106], s[34:35]
	v_mul_f64 v[105:106], v[105:106], s[28:29]
	;; [unrolled: 1-line block ×3, first 2 shown]
	v_add_f64 v[197:198], v[197:198], v[201:202]
	v_fma_f64 v[183:184], v[95:96], s[26:27], v[179:180]
	v_fma_f64 v[179:180], v[95:96], s[26:27], -v[179:180]
	v_add_f64 v[70:71], v[78:79], v[70:71]
	v_add_f64 v[154:155], v[68:69], v[154:155]
	v_add_f64 v[165:166], v[88:89], v[177:178]
	v_mul_f64 v[68:69], v[123:124], s[20:21]
	v_mul_f64 v[123:124], v[123:124], s[34:35]
	v_fma_f64 v[78:79], v[93:94], s[26:27], -v[203:204]
	v_mul_f64 v[203:204], v[121:122], s[20:21]
	v_mul_f64 v[121:122], v[121:122], s[34:35]
	v_fma_f64 v[84:85], v[111:112], s[22:23], v[80:81]
	v_fma_f64 v[86:87], v[111:112], s[26:27], v[82:83]
	v_fma_f64 v[82:83], v[111:112], s[26:27], -v[82:83]
	v_fma_f64 v[80:81], v[111:112], s[22:23], -v[80:81]
	v_add_f64 v[175:176], v[205:206], v[175:176]
	v_fma_f64 v[205:206], v[117:118], s[26:27], -v[217:218]
	v_add_f64 v[62:63], v[76:77], v[62:63]
	v_add_f64 v[167:168], v[185:186], v[167:168]
	v_fma_f64 v[201:202], v[113:114], s[26:27], -v[193:194]
	v_fma_f64 v[185:186], v[113:114], s[22:23], -v[105:106]
	v_fma_f64 v[193:194], v[113:114], s[26:27], v[193:194]
	v_fma_f64 v[105:106], v[113:114], s[22:23], v[105:106]
	;; [unrolled: 1-line block ×3, first 2 shown]
	v_mul_f64 v[113:114], v[115:116], s[8:9]
	v_mul_f64 v[115:116], v[115:116], s[38:39]
	v_add_f64 v[58:59], v[58:59], v[74:75]
	v_add_f64 v[125:126], v[125:126], v[165:166]
	v_fma_f64 v[165:166], v[107:108], s[10:11], -v[68:69]
	v_fma_f64 v[217:218], v[107:108], s[26:27], -v[123:124]
	v_add_f64 v[56:57], v[56:57], v[72:73]
	v_add_f64 v[70:71], v[195:196], v[70:71]
	v_fma_f64 v[195:196], v[131:132], s[22:23], v[199:200]
	v_fma_f64 v[199:200], v[135:136], s[10:11], v[219:220]
	v_mul_f64 v[111:112], v[119:120], s[8:9]
	v_mul_f64 v[119:120], v[119:120], s[38:39]
	v_fma_f64 v[219:220], v[109:110], s[26:27], v[121:122]
	v_add_f64 v[72:73], v[88:89], v[84:85]
	v_fma_f64 v[215:216], v[109:110], s[10:11], v[203:204]
	v_add_f64 v[74:75], v[88:89], v[86:87]
	;; [unrolled: 2-line block ×3, first 2 shown]
	v_add_f64 v[185:186], v[90:91], v[185:186]
	v_add_f64 v[86:87], v[90:91], v[193:194]
	v_fma_f64 v[193:194], v[109:110], s[10:11], -v[203:204]
	v_add_f64 v[82:83], v[88:89], v[82:83]
	v_fma_f64 v[107:108], v[107:108], s[26:27], v[123:124]
	v_add_f64 v[90:91], v[90:91], v[105:106]
	v_fma_f64 v[105:106], v[109:110], s[26:27], -v[121:122]
	v_add_f64 v[80:81], v[88:89], v[80:81]
	v_mul_f64 v[84:85], v[103:104], s[36:37]
	v_fma_f64 v[109:110], v[133:134], s[0:1], -v[113:114]
	v_mul_f64 v[103:104], v[103:104], s[20:21]
	v_add_f64 v[58:59], v[58:59], v[66:67]
	v_add_f64 v[56:57], v[56:57], v[64:65]
	v_mul_f64 v[88:89], v[139:140], s[36:37]
	v_mul_f64 v[139:140], v[139:140], s[20:21]
	v_fma_f64 v[123:124], v[135:136], s[0:1], v[111:112]
	v_mul_f64 v[97:98], v[97:98], s[8:9]
	v_add_f64 v[64:65], v[219:220], v[72:73]
	v_mul_f64 v[72:73], v[101:102], s[16:17]
	v_add_f64 v[66:67], v[215:216], v[74:75]
	v_fma_f64 v[74:75], v[133:134], s[0:1], v[113:114]
	v_add_f64 v[121:122], v[165:166], v[201:202]
	v_fma_f64 v[165:166], v[133:134], s[2:3], -v[115:116]
	v_add_f64 v[185:186], v[217:218], v[185:186]
	v_fma_f64 v[201:202], v[135:136], s[2:3], v[119:120]
	v_add_f64 v[68:69], v[68:69], v[86:87]
	v_fma_f64 v[86:87], v[135:136], s[0:1], -v[111:112]
	v_add_f64 v[82:83], v[193:194], v[82:83]
	v_fma_f64 v[111:112], v[133:134], s[2:3], v[115:116]
	v_add_f64 v[90:91], v[107:108], v[90:91]
	v_fma_f64 v[107:108], v[135:136], s[2:3], -v[119:120]
	v_add_f64 v[80:81], v[105:106], v[80:81]
	v_fma_f64 v[113:114], v[99:100], s[24:25], -v[84:85]
	v_mul_f64 v[101:102], v[101:102], s[18:19]
	v_add_f64 v[54:55], v[58:59], v[54:55]
	v_add_f64 v[52:53], v[56:57], v[52:53]
	v_mul_f64 v[119:120], v[137:138], s[18:19]
	v_fma_f64 v[135:136], v[131:132], s[10:11], v[139:140]
	v_mul_f64 v[105:106], v[137:138], s[16:17]
	v_fma_f64 v[115:116], v[131:132], s[24:25], v[88:89]
	v_add_f64 v[163:164], v[181:182], v[163:164]
	v_add_f64 v[58:59], v[123:124], v[66:67]
	v_fma_f64 v[66:67], v[99:100], s[24:25], v[84:85]
	v_add_f64 v[109:110], v[109:110], v[121:122]
	v_fma_f64 v[121:122], v[99:100], s[10:11], -v[103:104]
	v_add_f64 v[133:134], v[165:166], v[185:186]
	v_add_f64 v[56:57], v[201:202], v[64:65]
	;; [unrolled: 1-line block ×4, first 2 shown]
	v_fma_f64 v[74:75], v[131:132], s[24:25], -v[88:89]
	v_add_f64 v[82:83], v[86:87], v[82:83]
	v_fma_f64 v[84:85], v[99:100], s[10:11], v[103:104]
	v_add_f64 v[86:87], v[111:112], v[90:91]
	v_fma_f64 v[88:89], v[131:132], s[10:11], -v[139:140]
	v_add_f64 v[80:81], v[107:108], v[80:81]
	v_fma_f64 v[99:100], v[95:96], s[2:3], -v[72:73]
	v_fma_f64 v[111:112], v[95:96], s[24:25], -v[101:102]
	v_add_f64 v[50:51], v[54:55], v[50:51]
	v_add_f64 v[48:49], v[52:53], v[48:49]
	v_mul_f64 v[181:182], v[127:128], s[18:19]
	v_fma_f64 v[107:108], v[129:130], s[2:3], v[105:106]
	v_fma_f64 v[90:91], v[129:130], s[26:27], v[189:190]
	v_add_f64 v[70:71], v[179:180], v[70:71]
	v_add_f64 v[54:55], v[115:116], v[58:59]
	v_fma_f64 v[58:59], v[95:96], s[2:3], v[72:73]
	v_add_f64 v[103:104], v[113:114], v[109:110]
	v_mul_f64 v[109:110], v[127:128], s[8:9]
	v_add_f64 v[113:114], v[121:122], v[133:134]
	v_fma_f64 v[121:122], v[129:130], s[24:25], v[119:120]
	v_add_f64 v[52:53], v[135:136], v[56:57]
	v_add_f64 v[56:57], v[195:196], v[64:65]
	;; [unrolled: 1-line block ×3, first 2 shown]
	v_fma_f64 v[66:67], v[129:130], s[2:3], -v[105:106]
	v_add_f64 v[68:69], v[74:75], v[82:83]
	v_fma_f64 v[72:73], v[95:96], s[24:25], v[101:102]
	v_add_f64 v[74:75], v[84:85], v[86:87]
	v_fma_f64 v[82:83], v[129:130], s[24:25], -v[119:120]
	v_add_f64 v[80:81], v[88:89], v[80:81]
	v_fma_f64 v[84:85], v[93:94], s[24:25], -v[173:174]
	v_fma_f64 v[101:102], v[93:94], s[0:1], -v[97:98]
	;; [unrolled: 1-line block ×4, first 2 shown]
	v_fma_f64 v[191:192], v[117:118], s[10:11], v[191:192]
	v_fma_f64 v[86:87], v[117:118], s[24:25], v[181:182]
	;; [unrolled: 1-line block ×3, first 2 shown]
	v_add_f64 v[107:108], v[107:108], v[54:55]
	v_fma_f64 v[187:188], v[93:94], s[10:11], -v[187:188]
	v_add_f64 v[95:96], v[99:100], v[103:104]
	v_fma_f64 v[105:106], v[117:118], s[0:1], v[109:110]
	v_add_f64 v[103:104], v[111:112], v[113:114]
	v_add_f64 v[111:112], v[50:51], v[6:7]
	;; [unrolled: 1-line block ×4, first 2 shown]
	v_fma_f64 v[99:100], v[117:118], s[22:23], v[213:214]
	v_add_f64 v[56:57], v[90:91], v[56:57]
	v_fma_f64 v[177:178], v[93:94], s[24:25], v[173:174]
	v_add_f64 v[163:164], v[183:184], v[163:164]
	v_fma_f64 v[183:184], v[117:118], s[24:25], -v[181:182]
	v_fma_f64 v[90:91], v[93:94], s[22:23], v[207:208]
	v_add_f64 v[115:116], v[58:59], v[64:65]
	v_fma_f64 v[119:120], v[117:118], s[22:23], -v[213:214]
	v_add_f64 v[121:122], v[66:67], v[68:69]
	v_fma_f64 v[93:94], v[93:94], s[0:1], v[97:98]
	v_add_f64 v[97:98], v[72:73], v[74:75]
	v_fma_f64 v[109:110], v[117:118], s[0:1], -v[109:110]
	v_add_f64 v[80:81], v[82:83], v[80:81]
	v_add_f64 v[58:59], v[78:79], v[62:63]
	;; [unrolled: 1-line block ×23, first 2 shown]
	v_and_b32_e32 v84, 0xffff, v160
	v_lshl_add_u32 v84, v84, 4, v159
	ds_write_b128 v84, v[0:3]
	ds_write_b128 v84, v[68:71] offset:16
	ds_write_b128 v84, v[64:67] offset:32
	;; [unrolled: 1-line block ×12, first 2 shown]
.LBB0_13:
	s_or_b32 exec_lo, exec_lo, s33
	s_waitcnt lgkmcnt(0)
	s_barrier
	buffer_gl0_inv
	ds_read_b128 v[4:7], v145 offset:208
	ds_read_b128 v[0:3], v145
	ds_read_b128 v[48:51], v145 offset:416
	ds_read_b128 v[52:55], v145 offset:624
	;; [unrolled: 1-line block ×9, first 2 shown]
	s_mov_b32 s2, 0xf8bb580b
	s_mov_b32 s8, 0x8764f0ba
	;; [unrolled: 1-line block ×9, first 2 shown]
	s_waitcnt lgkmcnt(10)
	v_mul_f64 v[84:85], v[30:31], v[6:7]
	v_mul_f64 v[30:31], v[30:31], v[4:5]
	s_waitcnt lgkmcnt(8)
	v_mul_f64 v[88:89], v[18:19], v[50:51]
	v_mul_f64 v[18:19], v[18:19], v[48:49]
	s_waitcnt lgkmcnt(6)
	v_mul_f64 v[93:94], v[10:11], v[58:59]
	v_mul_f64 v[10:11], v[10:11], v[56:57]
	s_mov_b32 s18, 0xd9c712b6
	s_waitcnt lgkmcnt(3)
	v_mul_f64 v[95:96], v[34:35], v[70:71]
	s_waitcnt lgkmcnt(2)
	v_mul_f64 v[90:91], v[38:39], v[74:75]
	v_mul_f64 v[38:39], v[38:39], v[72:73]
	s_waitcnt lgkmcnt(0)
	v_mul_f64 v[86:87], v[46:47], v[80:81]
	v_mul_f64 v[34:35], v[34:35], v[68:69]
	s_mov_b32 s24, 0xbb3a28a1
	s_mov_b32 s28, 0x7f775887
	;; [unrolled: 1-line block ×10, first 2 shown]
	v_fma_f64 v[84:85], v[28:29], v[4:5], v[84:85]
	v_fma_f64 v[28:29], v[28:29], v[6:7], -v[30:31]
	v_mul_f64 v[6:7], v[46:47], v[82:83]
	v_mul_f64 v[30:31], v[42:43], v[78:79]
	;; [unrolled: 1-line block ×5, first 2 shown]
	v_fma_f64 v[48:49], v[16:17], v[48:49], v[88:89]
	v_fma_f64 v[16:17], v[16:17], v[50:51], -v[18:19]
	s_mov_b32 s37, 0xbfeeb42a
	v_fma_f64 v[4:5], v[44:45], v[82:83], -v[86:87]
	v_mul_f64 v[82:83], v[22:23], v[62:63]
	v_mul_f64 v[22:23], v[22:23], v[60:61]
	;; [unrolled: 1-line block ×4, first 2 shown]
	s_mov_b32 s0, s2
	s_mov_b32 s27, 0x3fefac9e
	;; [unrolled: 1-line block ×7, first 2 shown]
	v_add_f64 v[18:19], v[0:1], v[84:85]
	v_add_f64 v[50:51], v[2:3], v[28:29]
	v_fma_f64 v[6:7], v[44:45], v[80:81], v[6:7]
	v_fma_f64 v[30:31], v[40:41], v[76:77], v[30:31]
	v_fma_f64 v[40:41], v[40:41], v[78:79], -v[42:43]
	v_fma_f64 v[42:43], v[12:13], v[52:53], v[46:47]
	v_fma_f64 v[12:13], v[12:13], v[54:55], -v[14:15]
	;; [unrolled: 2-line block ×6, first 2 shown]
	v_add_f64 v[34:35], v[28:29], -v[4:5]
	v_add_f64 v[28:29], v[28:29], v[4:5]
	v_fma_f64 v[22:23], v[24:25], v[64:65], v[86:87]
	v_fma_f64 v[24:25], v[24:25], v[66:67], -v[26:27]
	s_mov_b32 s16, s10
	s_mov_b32 s34, s24
	v_add_f64 v[18:19], v[18:19], v[48:49]
	v_add_f64 v[46:47], v[50:51], v[16:17]
	;; [unrolled: 1-line block ×3, first 2 shown]
	v_add_f64 v[50:51], v[84:85], -v[6:7]
	v_add_f64 v[54:55], v[16:17], -v[40:41]
	v_add_f64 v[16:17], v[16:17], v[40:41]
	v_add_f64 v[52:53], v[48:49], v[30:31]
	;; [unrolled: 1-line block ×4, first 2 shown]
	v_add_f64 v[62:63], v[12:13], -v[36:37]
	v_add_f64 v[60:61], v[42:43], -v[14:15]
	;; [unrolled: 1-line block ×3, first 2 shown]
	v_add_f64 v[66:67], v[8:9], v[32:33]
	v_add_f64 v[68:69], v[8:9], -v[32:33]
	v_add_f64 v[64:65], v[38:39], v[10:11]
	v_mul_f64 v[70:71], v[34:35], s[2:3]
	v_mul_f64 v[72:73], v[28:29], s[8:9]
	;; [unrolled: 1-line block ×6, first 2 shown]
	v_add_f64 v[18:19], v[18:19], v[42:43]
	v_add_f64 v[12:13], v[46:47], v[12:13]
	v_mul_f64 v[42:43], v[34:35], s[20:21]
	v_mul_f64 v[46:47], v[28:29], s[22:23]
	;; [unrolled: 1-line block ×13, first 2 shown]
	v_fma_f64 v[113:114], v[26:27], s[8:9], v[70:71]
	v_fma_f64 v[115:116], v[50:51], s[0:1], v[72:73]
	v_mul_f64 v[16:17], v[16:17], s[8:9]
	v_mul_f64 v[99:100], v[62:63], s[20:21]
	;; [unrolled: 1-line block ×3, first 2 shown]
	v_fma_f64 v[70:71], v[26:27], s[8:9], -v[70:71]
	v_fma_f64 v[72:73], v[50:51], s[2:3], v[72:73]
	v_add_f64 v[18:19], v[18:19], v[38:39]
	v_add_f64 v[8:9], v[12:13], v[8:9]
	v_fma_f64 v[121:122], v[26:27], s[22:23], v[42:43]
	v_fma_f64 v[123:124], v[50:51], s[26:27], v[46:47]
	v_fma_f64 v[42:43], v[26:27], s[22:23], -v[42:43]
	v_fma_f64 v[46:47], v[50:51], s[20:21], v[46:47]
	v_fma_f64 v[117:118], v[26:27], s[18:19], v[74:75]
	v_fma_f64 v[119:120], v[50:51], s[16:17], v[76:77]
	v_fma_f64 v[74:75], v[26:27], s[18:19], -v[74:75]
	v_fma_f64 v[76:77], v[50:51], s[10:11], v[76:77]
	;; [unrolled: 4-line block ×4, first 2 shown]
	v_fma_f64 v[34:35], v[52:53], s[18:19], v[82:83]
	v_fma_f64 v[50:51], v[48:49], s[16:17], v[84:85]
	v_add_f64 v[113:114], v[0:1], v[113:114]
	v_add_f64 v[115:116], v[2:3], v[115:116]
	;; [unrolled: 1-line block ×4, first 2 shown]
	v_mul_f64 v[12:13], v[62:63], s[16:17]
	v_mul_f64 v[107:108], v[58:59], s[18:19]
	v_fma_f64 v[137:138], v[52:53], s[36:37], v[90:91]
	v_fma_f64 v[139:140], v[48:49], s[30:31], v[93:94]
	v_fma_f64 v[90:91], v[52:53], s[36:37], -v[90:91]
	v_fma_f64 v[93:94], v[48:49], s[38:39], v[93:94]
	v_add_f64 v[42:43], v[0:1], v[42:43]
	v_add_f64 v[46:47], v[2:3], v[46:47]
	v_mul_f64 v[109:110], v[62:63], s[2:3]
	v_fma_f64 v[82:83], v[52:53], s[18:19], -v[82:83]
	v_fma_f64 v[84:85], v[48:49], s[10:11], v[84:85]
	v_fma_f64 v[133:134], v[52:53], s[28:29], v[86:87]
	;; [unrolled: 1-line block ×3, first 2 shown]
	v_fma_f64 v[86:87], v[52:53], s[28:29], -v[86:87]
	v_fma_f64 v[88:89], v[48:49], s[24:25], v[88:89]
	v_fma_f64 v[142:143], v[52:53], s[22:23], v[95:96]
	;; [unrolled: 1-line block ×3, first 2 shown]
	v_fma_f64 v[95:96], v[52:53], s[22:23], -v[95:96]
	v_fma_f64 v[97:98], v[48:49], s[26:27], v[97:98]
	v_fma_f64 v[146:147], v[52:53], s[8:9], v[54:55]
	v_add_f64 v[18:19], v[18:19], v[22:23]
	v_add_f64 v[8:9], v[8:9], v[24:25]
	v_fma_f64 v[148:149], v[48:49], s[2:3], v[16:17]
	v_fma_f64 v[52:53], v[52:53], s[8:9], -v[54:55]
	v_fma_f64 v[16:17], v[48:49], s[0:1], v[16:17]
	v_fma_f64 v[48:49], v[56:57], s[22:23], v[99:100]
	;; [unrolled: 1-line block ×3, first 2 shown]
	v_add_f64 v[74:75], v[0:1], v[74:75]
	v_add_f64 v[76:77], v[2:3], v[76:77]
	;; [unrolled: 1-line block ×4, first 2 shown]
	v_mul_f64 v[103:104], v[62:63], s[38:39]
	v_mul_f64 v[111:112], v[58:59], s[8:9]
	;; [unrolled: 1-line block ×4, first 2 shown]
	v_fma_f64 v[154:155], v[56:57], s[18:19], v[12:13]
	v_fma_f64 v[159:160], v[60:61], s[10:11], v[107:108]
	v_fma_f64 v[12:13], v[56:57], s[18:19], -v[12:13]
	v_fma_f64 v[107:108], v[60:61], s[16:17], v[107:108]
	v_add_f64 v[42:43], v[90:91], v[42:43]
	v_add_f64 v[46:47], v[93:94], v[46:47]
	v_mul_f64 v[58:59], v[58:59], s[28:29]
	v_add_f64 v[18:19], v[18:19], v[10:11]
	v_add_f64 v[8:9], v[8:9], v[32:33]
	;; [unrolled: 1-line block ×16, first 2 shown]
	v_fma_f64 v[99:100], v[56:57], s[22:23], -v[99:100]
	v_add_f64 v[10:11], v[38:39], -v[10:11]
	v_fma_f64 v[38:39], v[56:57], s[8:9], v[109:110]
	v_fma_f64 v[101:102], v[60:61], s[20:21], v[101:102]
	;; [unrolled: 1-line block ×4, first 2 shown]
	v_add_f64 v[14:15], v[18:19], v[14:15]
	v_add_f64 v[8:9], v[8:9], v[36:37]
	;; [unrolled: 1-line block ×6, first 2 shown]
	v_fma_f64 v[103:104], v[56:57], s[36:37], -v[103:104]
	v_add_f64 v[36:37], v[135:136], v[117:118]
	v_add_f64 v[76:77], v[142:143], v[123:124]
	;; [unrolled: 1-line block ×4, first 2 shown]
	v_fma_f64 v[105:106], v[60:61], s[38:39], v[105:106]
	v_add_f64 v[0:1], v[52:53], v[0:1]
	v_add_f64 v[2:3], v[16:17], v[2:3]
	;; [unrolled: 1-line block ×4, first 2 shown]
	v_mul_f64 v[28:29], v[68:69], s[24:25]
	v_mul_f64 v[48:49], v[68:69], s[26:27]
	;; [unrolled: 1-line block ×3, first 2 shown]
	v_add_f64 v[78:79], v[95:96], v[78:79]
	v_add_f64 v[80:81], v[97:98], v[80:81]
	v_fma_f64 v[54:55], v[56:57], s[8:9], -v[109:110]
	v_add_f64 v[14:15], v[14:15], v[30:31]
	v_add_f64 v[8:9], v[8:9], v[40:41]
	v_mul_f64 v[30:31], v[66:67], s[28:29]
	v_fma_f64 v[40:41], v[60:61], s[0:1], v[111:112]
	v_fma_f64 v[88:89], v[60:61], s[2:3], v[111:112]
	v_add_f64 v[12:13], v[12:13], v[42:43]
	v_add_f64 v[42:43], v[107:108], v[46:47]
	v_fma_f64 v[46:47], v[56:57], s[28:29], -v[62:63]
	v_add_f64 v[72:73], v[137:138], v[119:120]
	v_fma_f64 v[90:91], v[56:57], s[28:29], v[62:63]
	v_mul_f64 v[62:63], v[68:69], s[2:3]
	v_add_f64 v[74:75], v[139:140], v[121:122]
	v_add_f64 v[18:19], v[99:100], v[18:19]
	v_fma_f64 v[93:94], v[60:61], s[34:35], v[58:59]
	v_fma_f64 v[56:57], v[60:61], s[24:25], v[58:59]
	v_add_f64 v[38:39], v[38:39], v[76:77]
	v_fma_f64 v[58:59], v[64:65], s[28:29], v[28:29]
	v_fma_f64 v[28:29], v[64:65], s[28:29], -v[28:29]
	v_mul_f64 v[76:77], v[66:67], s[8:9]
	v_add_f64 v[32:33], v[101:102], v[32:33]
	v_add_f64 v[34:35], v[150:151], v[34:35]
	;; [unrolled: 1-line block ×4, first 2 shown]
	v_fma_f64 v[95:96], v[10:11], s[20:21], v[52:53]
	v_fma_f64 v[60:61], v[10:11], s[34:35], v[30:31]
	v_add_f64 v[40:41], v[40:41], v[82:83]
	v_fma_f64 v[30:31], v[10:11], s[24:25], v[30:31]
	v_fma_f64 v[82:83], v[64:65], s[22:23], v[48:49]
	v_fma_f64 v[48:49], v[64:65], s[22:23], -v[48:49]
	v_add_f64 v[70:71], v[105:106], v[70:71]
	v_add_f64 v[54:55], v[54:55], v[78:79]
	v_fma_f64 v[52:53], v[10:11], s[26:27], v[52:53]
	v_add_f64 v[78:79], v[88:89], v[80:81]
	v_mul_f64 v[80:81], v[68:69], s[30:31]
	v_mul_f64 v[88:89], v[66:67], s[36:37]
	;; [unrolled: 1-line block ×4, first 2 shown]
	v_add_f64 v[0:1], v[46:47], v[0:1]
	v_add_f64 v[46:47], v[20:21], -v[24:25]
	v_add_f64 v[20:21], v[20:21], v[24:25]
	v_add_f64 v[84:85], v[146:147], v[127:128]
	;; [unrolled: 1-line block ×4, first 2 shown]
	v_fma_f64 v[24:25], v[64:65], s[8:9], v[62:63]
	v_add_f64 v[74:75], v[159:160], v[74:75]
	v_add_f64 v[18:19], v[28:29], v[18:19]
	v_fma_f64 v[28:29], v[10:11], s[0:1], v[76:77]
	v_add_f64 v[2:3], v[56:57], v[2:3]
	v_add_f64 v[56:57], v[30:31], v[32:33]
	;; [unrolled: 1-line block ×3, first 2 shown]
	v_fma_f64 v[34:35], v[64:65], s[8:9], -v[62:63]
	v_add_f64 v[32:33], v[95:96], v[36:37]
	v_add_f64 v[36:37], v[48:49], v[50:51]
	v_fma_f64 v[50:51], v[10:11], s[2:3], v[76:77]
	v_add_f64 v[16:17], v[58:59], v[16:17]
	v_add_f64 v[26:27], v[60:61], v[26:27]
	;; [unrolled: 1-line block ×3, first 2 shown]
	v_fma_f64 v[52:53], v[64:65], s[36:37], v[80:81]
	v_fma_f64 v[58:59], v[10:11], s[38:39], v[88:89]
	v_fma_f64 v[60:61], v[64:65], s[36:37], -v[80:81]
	v_fma_f64 v[62:63], v[10:11], s[30:31], v[88:89]
	v_fma_f64 v[70:71], v[64:65], s[18:19], v[68:69]
	;; [unrolled: 1-line block ×3, first 2 shown]
	v_fma_f64 v[64:65], v[64:65], s[18:19], -v[68:69]
	v_fma_f64 v[10:11], v[10:11], s[16:17], v[66:67]
	v_add_f64 v[66:67], v[44:45], v[22:23]
	v_add_f64 v[22:23], v[44:45], -v[22:23]
	v_mul_f64 v[44:45], v[46:47], s[30:31]
	v_mul_f64 v[68:69], v[20:21], s[36:37]
	v_add_f64 v[84:85], v[90:91], v[84:85]
	v_add_f64 v[86:87], v[93:94], v[86:87]
	;; [unrolled: 1-line block ×3, first 2 shown]
	v_mul_f64 v[72:73], v[46:47], s[0:1]
	v_mul_f64 v[80:81], v[20:21], s[8:9]
	v_add_f64 v[28:29], v[28:29], v[74:75]
	v_mul_f64 v[74:75], v[46:47], s[24:25]
	v_mul_f64 v[82:83], v[20:21], s[28:29]
	v_add_f64 v[34:35], v[34:35], v[12:13]
	;; [unrolled: 3-line block ×4, first 2 shown]
	v_add_f64 v[46:47], v[60:61], v[54:55]
	v_add_f64 v[52:53], v[62:63], v[78:79]
	;; [unrolled: 1-line block ×5, first 2 shown]
	v_fma_f64 v[62:63], v[66:67], s[36:37], v[44:45]
	v_fma_f64 v[64:65], v[22:23], s[38:39], v[68:69]
	v_add_f64 v[54:55], v[70:71], v[84:85]
	v_add_f64 v[58:59], v[76:77], v[86:87]
	v_fma_f64 v[44:45], v[66:67], s[36:37], -v[44:45]
	v_fma_f64 v[70:71], v[66:67], s[8:9], v[72:73]
	v_fma_f64 v[76:77], v[22:23], s[2:3], v[80:81]
	v_fma_f64 v[72:73], v[66:67], s[8:9], -v[72:73]
	v_fma_f64 v[78:79], v[66:67], s[28:29], v[74:75]
	v_fma_f64 v[84:85], v[22:23], s[34:35], v[82:83]
	;; [unrolled: 3-line block ×5, first 2 shown]
	v_fma_f64 v[82:83], v[22:23], s[24:25], v[82:83]
	v_fma_f64 v[80:81], v[22:23], s[0:1], v[80:81]
	;; [unrolled: 1-line block ×3, first 2 shown]
	v_add_f64 v[0:1], v[14:15], v[6:7]
	v_add_f64 v[2:3], v[8:9], v[4:5]
	;; [unrolled: 1-line block ×22, first 2 shown]
	ds_write_b128 v141, v[0:3]
	ds_write_b128 v141, v[4:7] offset:208
	ds_write_b128 v141, v[12:15] offset:416
	;; [unrolled: 1-line block ×10, first 2 shown]
	s_waitcnt lgkmcnt(0)
	s_barrier
	buffer_gl0_inv
	s_and_b32 exec_lo, exec_lo, vcc_lo
	s_cbranch_execz .LBB0_15
; %bb.14:
	s_clause 0xb
	global_load_dwordx4 v[0:3], v157, s[12:13]
	global_load_dwordx4 v[4:7], v157, s[12:13] offset:176
	global_load_dwordx4 v[8:11], v157, s[12:13] offset:352
	;; [unrolled: 1-line block ×11, first 2 shown]
	v_mad_u64_u32 v[48:49], null, s6, v92, 0
	v_mad_u64_u32 v[50:51], null, s4, v158, 0
	s_mul_i32 s0, s5, 0xb0
	s_mul_hi_u32 s1, s4, 0xb0
	s_mul_i32 s2, s4, 0xb0
	s_add_i32 s3, s1, s0
	v_add_co_u32 v140, s0, s12, v157
	v_mad_u64_u32 v[52:53], null, s7, v92, v[49:50]
	v_add_co_ci_u32_e64 v142, null, s13, 0, s0
	s_mov_b32 s0, 0x55ee191
	s_mov_b32 s1, 0x3f7ca4b3
	v_mad_u64_u32 v[53:54], null, s5, v158, v[51:52]
	v_mov_b32_e32 v49, v52
	v_lshlrev_b64 v[48:49], 4, v[48:49]
	v_mov_b32_e32 v51, v53
	v_add_co_u32 v48, vcc_lo, s14, v48
	v_lshlrev_b64 v[50:51], 4, v[50:51]
	v_add_co_ci_u32_e32 v49, vcc_lo, s15, v49, vcc_lo
	v_add_co_u32 v96, vcc_lo, v48, v50
	v_add_co_ci_u32_e32 v97, vcc_lo, v49, v51, vcc_lo
	ds_read_b128 v[48:51], v141
	ds_read_b128 v[52:55], v141 offset:176
	ds_read_b128 v[56:59], v141 offset:352
	;; [unrolled: 1-line block ×11, first 2 shown]
	v_add_co_u32 v98, vcc_lo, v96, s2
	v_add_co_ci_u32_e32 v99, vcc_lo, s3, v97, vcc_lo
	v_add_co_u32 v100, vcc_lo, v98, s2
	v_add_co_ci_u32_e32 v101, vcc_lo, s3, v99, vcc_lo
	;; [unrolled: 2-line block ×9, first 2 shown]
	s_waitcnt vmcnt(11) lgkmcnt(11)
	v_mul_f64 v[116:117], v[50:51], v[2:3]
	v_mul_f64 v[2:3], v[48:49], v[2:3]
	s_waitcnt vmcnt(10) lgkmcnt(10)
	v_mul_f64 v[118:119], v[54:55], v[6:7]
	v_mul_f64 v[6:7], v[52:53], v[6:7]
	;; [unrolled: 3-line block ×12, first 2 shown]
	v_fma_f64 v[48:49], v[48:49], v[0:1], v[116:117]
	v_fma_f64 v[2:3], v[0:1], v[50:51], -v[2:3]
	v_fma_f64 v[50:51], v[52:53], v[4:5], v[118:119]
	v_fma_f64 v[6:7], v[4:5], v[54:55], -v[6:7]
	;; [unrolled: 2-line block ×12, first 2 shown]
	v_mul_f64 v[0:1], v[48:49], s[0:1]
	v_mul_f64 v[2:3], v[2:3], s[0:1]
	;; [unrolled: 1-line block ×24, first 2 shown]
	v_add_co_u32 v48, vcc_lo, v114, s2
	v_add_co_ci_u32_e32 v49, vcc_lo, s3, v115, vcc_lo
	v_add_co_u32 v50, vcc_lo, 0x800, v140
	v_add_co_ci_u32_e32 v51, vcc_lo, 0, v142, vcc_lo
	;; [unrolled: 2-line block ×3, first 2 shown]
	global_store_dwordx4 v[96:97], v[0:3], off
	global_store_dwordx4 v[98:99], v[4:7], off
	;; [unrolled: 1-line block ×12, first 2 shown]
	global_load_dwordx4 v[0:3], v[50:51], off offset:64
	ds_read_b128 v[4:7], v141 offset:2112
	s_waitcnt vmcnt(0) lgkmcnt(0)
	v_mul_f64 v[8:9], v[6:7], v[2:3]
	v_mul_f64 v[2:3], v[4:5], v[2:3]
	v_fma_f64 v[4:5], v[4:5], v[0:1], v[8:9]
	v_fma_f64 v[2:3], v[0:1], v[6:7], -v[2:3]
	v_mul_f64 v[0:1], v[4:5], s[0:1]
	v_mul_f64 v[2:3], v[2:3], s[0:1]
	v_add_co_u32 v4, vcc_lo, v52, s2
	v_add_co_ci_u32_e32 v5, vcc_lo, s3, v53, vcc_lo
	global_store_dwordx4 v[4:5], v[0:3], off
.LBB0_15:
	s_endpgm
	.section	.rodata,"a",@progbits
	.p2align	6, 0x0
	.amdhsa_kernel bluestein_single_back_len143_dim1_dp_op_CI_CI
		.amdhsa_group_segment_fixed_size 32032
		.amdhsa_private_segment_fixed_size 0
		.amdhsa_kernarg_size 104
		.amdhsa_user_sgpr_count 6
		.amdhsa_user_sgpr_private_segment_buffer 1
		.amdhsa_user_sgpr_dispatch_ptr 0
		.amdhsa_user_sgpr_queue_ptr 0
		.amdhsa_user_sgpr_kernarg_segment_ptr 1
		.amdhsa_user_sgpr_dispatch_id 0
		.amdhsa_user_sgpr_flat_scratch_init 0
		.amdhsa_user_sgpr_private_segment_size 0
		.amdhsa_wavefront_size32 1
		.amdhsa_uses_dynamic_stack 0
		.amdhsa_system_sgpr_private_segment_wavefront_offset 0
		.amdhsa_system_sgpr_workgroup_id_x 1
		.amdhsa_system_sgpr_workgroup_id_y 0
		.amdhsa_system_sgpr_workgroup_id_z 0
		.amdhsa_system_sgpr_workgroup_info 0
		.amdhsa_system_vgpr_workitem_id 0
		.amdhsa_next_free_vgpr 240
		.amdhsa_next_free_sgpr 46
		.amdhsa_reserve_vcc 1
		.amdhsa_reserve_flat_scratch 0
		.amdhsa_float_round_mode_32 0
		.amdhsa_float_round_mode_16_64 0
		.amdhsa_float_denorm_mode_32 3
		.amdhsa_float_denorm_mode_16_64 3
		.amdhsa_dx10_clamp 1
		.amdhsa_ieee_mode 1
		.amdhsa_fp16_overflow 0
		.amdhsa_workgroup_processor_mode 1
		.amdhsa_memory_ordered 1
		.amdhsa_forward_progress 0
		.amdhsa_shared_vgpr_count 0
		.amdhsa_exception_fp_ieee_invalid_op 0
		.amdhsa_exception_fp_denorm_src 0
		.amdhsa_exception_fp_ieee_div_zero 0
		.amdhsa_exception_fp_ieee_overflow 0
		.amdhsa_exception_fp_ieee_underflow 0
		.amdhsa_exception_fp_ieee_inexact 0
		.amdhsa_exception_int_div_zero 0
	.end_amdhsa_kernel
	.text
.Lfunc_end0:
	.size	bluestein_single_back_len143_dim1_dp_op_CI_CI, .Lfunc_end0-bluestein_single_back_len143_dim1_dp_op_CI_CI
                                        ; -- End function
	.section	.AMDGPU.csdata,"",@progbits
; Kernel info:
; codeLenInByte = 17676
; NumSgprs: 48
; NumVgprs: 240
; ScratchSize: 0
; MemoryBound: 0
; FloatMode: 240
; IeeeMode: 1
; LDSByteSize: 32032 bytes/workgroup (compile time only)
; SGPRBlocks: 5
; VGPRBlocks: 29
; NumSGPRsForWavesPerEU: 48
; NumVGPRsForWavesPerEU: 240
; Occupancy: 4
; WaveLimiterHint : 1
; COMPUTE_PGM_RSRC2:SCRATCH_EN: 0
; COMPUTE_PGM_RSRC2:USER_SGPR: 6
; COMPUTE_PGM_RSRC2:TRAP_HANDLER: 0
; COMPUTE_PGM_RSRC2:TGID_X_EN: 1
; COMPUTE_PGM_RSRC2:TGID_Y_EN: 0
; COMPUTE_PGM_RSRC2:TGID_Z_EN: 0
; COMPUTE_PGM_RSRC2:TIDIG_COMP_CNT: 0
	.text
	.p2alignl 6, 3214868480
	.fill 48, 4, 3214868480
	.type	__hip_cuid_c163f422a581581a,@object ; @__hip_cuid_c163f422a581581a
	.section	.bss,"aw",@nobits
	.globl	__hip_cuid_c163f422a581581a
__hip_cuid_c163f422a581581a:
	.byte	0                               ; 0x0
	.size	__hip_cuid_c163f422a581581a, 1

	.ident	"AMD clang version 19.0.0git (https://github.com/RadeonOpenCompute/llvm-project roc-6.4.0 25133 c7fe45cf4b819c5991fe208aaa96edf142730f1d)"
	.section	".note.GNU-stack","",@progbits
	.addrsig
	.addrsig_sym __hip_cuid_c163f422a581581a
	.amdgpu_metadata
---
amdhsa.kernels:
  - .args:
      - .actual_access:  read_only
        .address_space:  global
        .offset:         0
        .size:           8
        .value_kind:     global_buffer
      - .actual_access:  read_only
        .address_space:  global
        .offset:         8
        .size:           8
        .value_kind:     global_buffer
      - .actual_access:  read_only
        .address_space:  global
        .offset:         16
        .size:           8
        .value_kind:     global_buffer
      - .actual_access:  read_only
        .address_space:  global
        .offset:         24
        .size:           8
        .value_kind:     global_buffer
      - .actual_access:  read_only
        .address_space:  global
        .offset:         32
        .size:           8
        .value_kind:     global_buffer
      - .offset:         40
        .size:           8
        .value_kind:     by_value
      - .address_space:  global
        .offset:         48
        .size:           8
        .value_kind:     global_buffer
      - .address_space:  global
        .offset:         56
        .size:           8
        .value_kind:     global_buffer
      - .address_space:  global
        .offset:         64
        .size:           8
        .value_kind:     global_buffer
      - .address_space:  global
        .offset:         72
        .size:           8
        .value_kind:     global_buffer
      - .offset:         80
        .size:           4
        .value_kind:     by_value
      - .address_space:  global
        .offset:         88
        .size:           8
        .value_kind:     global_buffer
      - .address_space:  global
        .offset:         96
        .size:           8
        .value_kind:     global_buffer
    .group_segment_fixed_size: 32032
    .kernarg_segment_align: 8
    .kernarg_segment_size: 104
    .language:       OpenCL C
    .language_version:
      - 2
      - 0
    .max_flat_workgroup_size: 182
    .name:           bluestein_single_back_len143_dim1_dp_op_CI_CI
    .private_segment_fixed_size: 0
    .sgpr_count:     48
    .sgpr_spill_count: 0
    .symbol:         bluestein_single_back_len143_dim1_dp_op_CI_CI.kd
    .uniform_work_group_size: 1
    .uses_dynamic_stack: false
    .vgpr_count:     240
    .vgpr_spill_count: 0
    .wavefront_size: 32
    .workgroup_processor_mode: 1
amdhsa.target:   amdgcn-amd-amdhsa--gfx1030
amdhsa.version:
  - 1
  - 2
...

	.end_amdgpu_metadata
